;; amdgpu-corpus repo=ROCm/aiter kind=harvested arch=n/a opt=n/a

/root/src/amdgpu-assembly/repos/ROCm__aiter/hsa/gfx950/fmoe_2stages/fmoe_stage1_bf16_pertokenFp8_blockscale_g1u1_128x128_pf3.co:	file format elf64-amdgpu

Disassembly of section .text:

0000000000002a00 <_ZN5aiter56fmoe_stage1_bf16_pertokenFp8_blockscale_g1u1_128x128_pf3E>:
	s_and_b32 s1, s1, 0xffff                                   // 000000002A00: 8601FF01 0000FFFF
	s_load_dwordx2 s[8:9], s[0:1], 0x0                         // 000000002A08: C0060200 00000000
	s_load_dwordx2 s[20:21], s[0:1], 0x10                      // 000000002A10: C0060500 00000010
	s_load_dwordx2 s[24:25], s[0:1], 0x20                      // 000000002A18: C0060600 00000020
	s_load_dwordx2 s[48:49], s[0:1], 0x30                      // 000000002A20: C0060C00 00000030
	s_load_dwordx2 s[28:29], s[0:1], 0x40                      // 000000002A28: C0060700 00000040
	s_load_dwordx2 s[32:33], s[0:1], 0x50                      // 000000002A30: C0060800 00000050
	s_load_dwordx2 s[36:37], s[0:1], 0x60                      // 000000002A38: C0060900 00000060
	s_load_dwordx2 s[12:13], s[0:1], 0x70                      // 000000002A40: C0060300 00000070
	s_load_dwordx2 s[44:45], s[0:1], 0x80                      // 000000002A48: C0060B00 00000080
	s_mov_b32 s89, 0                                           // 000000002A50: BED90080
	s_load_dword s64, s[0:1], 0x90                             // 000000002A54: C0021000 00000090
	s_load_dword s65, s[0:1], 0xa0                             // 000000002A5C: C0021040 000000A0
	s_load_dword s66, s[0:1], 0xb0                             // 000000002A64: C0021080 000000B0
	s_load_dword s67, s[0:1], 0xc0                             // 000000002A6C: C00210C0 000000C0
	s_load_dword s68, s[0:1], 0xd0                             // 000000002A74: C0021100 000000D0
	s_load_dword s69, s[0:1], 0xe0                             // 000000002A7C: C0021140 000000E0
	s_load_dword s71, s[0:1], 0xf0                             // 000000002A84: C00211C0 000000F0
	s_load_dword s72, s[0:1], 0x100                            // 000000002A8C: C0021200 00000100
	s_load_dword s74, s[0:1], 0x110                            // 000000002A94: C0021280 00000110
	s_load_dword s76, s[0:1], 0x120                            // 000000002A9C: C0021300 00000120
	s_load_dword s56, s[0:1], 0x130                            // 000000002AA4: C0020E00 00000130
	s_load_dword s88, s[0:1], 0x140                            // 000000002AAC: C0021600 00000140
	s_load_dword s89, s[0:1], 0x150                            // 000000002AB4: C0021640 00000150
	v_lshrrev_b32_e32 v1, 10, v0                               // 000000002ABC: 2002008A
	v_lshrrev_b32_e32 v2, 10, v1                               // 000000002AC0: 2004028A
	v_and_b32_e32 v2, 0x3ff, v2                                // 000000002AC4: 260404FF 000003FF
	v_and_b32_e32 v1, 0x3ff, v1                                // 000000002ACC: 260202FF 000003FF
	v_and_b32_e32 v0, 0x3ff, v0                                // 000000002AD4: 260000FF 000003FF
	v_lshrrev_b32_e32 v3, 6, v0                                // 000000002ADC: 20060086
	v_and_b32_e32 v0, 63, v0                                   // 000000002AE0: 260000BF
	s_mov_b32 s2, s2                                           // 000000002AE4: BE820002
	s_mov_b32 s3, s3                                           // 000000002AE8: BE830003
	s_mov_b32 s4, s4                                           // 000000002AEC: BE840004
	v_readfirstlane_b32 s7, v3                                 // 000000002AF0: 7E0E0503
	s_waitcnt lgkmcnt(0)                                       // 000000002AF4: BF8CC07F
	s_and_b32 s49, s49, 0xffff                                 // 000000002AF8: 8631FF31 0000FFFF
	s_load_dword s48, s[48:49], 0x0                            // 000000002B00: C0020C18 00000000
	s_and_b32 s45, s45, 0xffff                                 // 000000002B08: 862DFF2D 0000FFFF
	s_and_b32 s9, s9, 0xffff                                   // 000000002B10: 8609FF09 0000FFFF
	s_mul_i32 s60, s66, s68                                    // 000000002B18: 923C4442
	s_mul_i32 s61, s66, 4                                      // 000000002B1C: 923D8442
	s_mov_b32 s22, s60                                         // 000000002B20: BE96003C
	s_mov_b32 s26, -16                                         // 000000002B24: BE9A00D0
	s_mov_b32 s30, s61                                         // 000000002B28: BE9E003D
	s_mov_b32 s14, 0x200                                       // 000000002B2C: BE8E00FF 00000200
	s_mov_b32 s38, -16                                         // 000000002B34: BEA600D0
	s_mov_b32 s10, -16                                         // 000000002B38: BE8A00D0
	s_lshr_b32 s60, s64, 7                                     // 000000002B3C: 8F3C8740
	s_mul_i32 s61, s60, 4                                      // 000000002B40: 923D843C
	s_lshr_b32 s60, s65, 7                                     // 000000002B44: 8F3C8741
	s_add_u32 s60, s60, 1                                      // 000000002B48: 803C813C
	s_mul_i32 s60, s60, s61                                    // 000000002B4C: 923C3D3C
	s_mov_b32 s34, s60                                         // 000000002B50: BEA2003C
	s_mov_b32 s23, 0x20000                                     // 000000002B54: BE9700FF 00020000
	s_mov_b32 s27, 0x20000                                     // 000000002B5C: BE9B00FF 00020000
	s_mov_b32 s31, 0x20000                                     // 000000002B64: BE9F00FF 00020000
	s_mov_b32 s35, 0x20000                                     // 000000002B6C: BEA300FF 00020000
	s_mov_b32 s15, 0x20000                                     // 000000002B74: BE8F00FF 00020000
	s_mov_b32 s39, 0x20000                                     // 000000002B7C: BEA700FF 00020000
	s_mov_b32 s11, 0x20000                                     // 000000002B84: BE8B00FF 00020000
	s_and_b32 s21, s21, 0xffff                                 // 000000002B8C: 8615FF15 0000FFFF
	s_and_b32 s25, s25, 0xffff                                 // 000000002B94: 8619FF19 0000FFFF
	s_and_b32 s29, s29, 0xffff                                 // 000000002B9C: 861DFF1D 0000FFFF
	s_and_b32 s33, s33, 0xffff                                 // 000000002BA4: 8621FF21 0000FFFF
	s_and_b32 s13, s13, 0xffff                                 // 000000002BAC: 860DFF0D 0000FFFF
	s_and_b32 s37, s37, 0xffff                                 // 000000002BB4: 8625FF25 0000FFFF
	s_or_b32 s21, s21, 0x40000                                 // 000000002BBC: 8715FF15 00040000
	s_or_b32 s25, s25, 0x40000                                 // 000000002BC4: 8719FF19 00040000
	s_or_b32 s29, s29, 0x40000                                 // 000000002BCC: 871DFF1D 00040000
	s_or_b32 s33, s33, 0x40000                                 // 000000002BD4: 8721FF21 00040000
	s_or_b32 s13, s13, 0x40000                                 // 000000002BDC: 870DFF0D 00040000
	s_or_b32 s37, s37, 0x40000                                 // 000000002BE4: 8725FF25 00040000
	v_accvgpr_write_b32 a175, 0                                // 000000002BEC: D3D940AF 18000080
	v_mov_b32_e32 v207, 0                                      // 000000002BF4: 7F9E0280
	s_waitcnt lgkmcnt(0)                                       // 000000002BF8: BF8CC07F
	s_mul_i32 s60, s3, 0x80                                    // 000000002BFC: 923CFF03 00000080
	s_cmp_lt_i32 s60, s48                                      // 000000002C04: BF04303C
	s_cbranch_scc0 label_4A48                                  // 000000002C08: BF8449C2
	s_mov_b32 s80, 0                                           // 000000002C0C: BED00080
	s_lshr_b32 s81, s64, s88                                   // 000000002C10: 8F515840
	s_mul_i32 s60, s3, 4                                       // 000000002C14: 923C8403
	s_add_u32 s44, s60, s44                                    // 000000002C18: 802C2C3C
	s_addc_u32 s45, 0, s45                                     // 000000002C1C: 822D2D80
	s_load_dword s5, s[44:45], 0x0                             // 000000002C20: C0020156 00000000
	s_mul_i32 s60, s3, 0x80                                    // 000000002C28: 923CFF03 00000080
	s_mul_i32 s60, 4, s60                                      // 000000002C30: 923C3C84
	s_add_u32 s12, s60, s12                                    // 000000002C34: 800C0C3C
	s_addc_u32 s13, 0, s13                                     // 000000002C38: 820D0D80
	v_and_b32_e32 v4, 15, v0                                   // 000000002C3C: 2608008F
	v_lshlrev_b32_e32 v4, 2, v4                                // 000000002C40: 24080882
	buffer_load_dword v30, v4, s[12:15], 0 offen               // 000000002C44: E0501000 80031E04
	v_add_u32_e32 v4, 64, v4                                   // 000000002C4C: 680808C0
	buffer_load_dword v31, v4, s[12:15], 0 offen               // 000000002C50: E0501000 80031F04
	v_add_u32_e32 v4, 64, v4                                   // 000000002C58: 680808C0
	buffer_load_dword v32, v4, s[12:15], 0 offen               // 000000002C5C: E0501000 80032004
	v_add_u32_e32 v4, 64, v4                                   // 000000002C64: 680808C0
	buffer_load_dword v33, v4, s[12:15], 0 offen               // 000000002C68: E0501000 80032104
	v_add_u32_e32 v4, 64, v4                                   // 000000002C70: 680808C0
	buffer_load_dword v34, v4, s[12:15], 0 offen               // 000000002C74: E0501000 80032204
	v_add_u32_e32 v4, 64, v4                                   // 000000002C7C: 680808C0
	buffer_load_dword v35, v4, s[12:15], 0 offen               // 000000002C80: E0501000 80032304
	v_add_u32_e32 v4, 64, v4                                   // 000000002C88: 680808C0
	buffer_load_dword v36, v4, s[12:15], 0 offen               // 000000002C8C: E0501000 80032404
	v_add_u32_e32 v4, 64, v4                                   // 000000002C94: 680808C0
	buffer_load_dword v37, v4, s[12:15], 0 offen               // 000000002C98: E0501000 80032504
	v_add_u32_e32 v4, 64, v4                                   // 000000002CA0: 680808C0
	s_mul_i32 s60, 4, s7                                       // 000000002CA4: 923C0784
	v_lshlrev_b32_e32 v4, 4, v0                                // 000000002CA8: 24080084
	v_add_u32_e32 v4, s60, v4                                  // 000000002CAC: 6808083C
	buffer_load_dword v3, v4, s[12:15], 0 offen                // 000000002CB0: E0501000 80030304
	v_mov_b32_e32 v80, 0                                       // 000000002CB8: 7EA00280
	v_mov_b32_e32 v144, 0                                      // 000000002CBC: 7F200280
	v_mov_b32_e32 v81, 0                                       // 000000002CC0: 7EA20280
	v_mov_b32_e32 v145, 0                                      // 000000002CC4: 7F220280
	v_mov_b32_e32 v82, 0                                       // 000000002CC8: 7EA40280
	v_mov_b32_e32 v146, 0                                      // 000000002CCC: 7F240280
	v_mov_b32_e32 v83, 0                                       // 000000002CD0: 7EA60280
	v_mov_b32_e32 v147, 0                                      // 000000002CD4: 7F260280
	v_mov_b32_e32 v84, 0                                       // 000000002CD8: 7EA80280
	v_mov_b32_e32 v148, 0                                      // 000000002CDC: 7F280280
	v_mov_b32_e32 v85, 0                                       // 000000002CE0: 7EAA0280
	v_mov_b32_e32 v149, 0                                      // 000000002CE4: 7F2A0280
	v_mov_b32_e32 v86, 0                                       // 000000002CE8: 7EAC0280
	v_mov_b32_e32 v150, 0                                      // 000000002CEC: 7F2C0280
	v_mov_b32_e32 v87, 0                                       // 000000002CF0: 7EAE0280
	v_mov_b32_e32 v151, 0                                      // 000000002CF4: 7F2E0280
	v_mov_b32_e32 v88, 0                                       // 000000002CF8: 7EB00280
	v_mov_b32_e32 v152, 0                                      // 000000002CFC: 7F300280
	v_mov_b32_e32 v89, 0                                       // 000000002D00: 7EB20280
	v_mov_b32_e32 v153, 0                                      // 000000002D04: 7F320280
	v_mov_b32_e32 v90, 0                                       // 000000002D08: 7EB40280
	v_mov_b32_e32 v154, 0                                      // 000000002D0C: 7F340280
	v_mov_b32_e32 v91, 0                                       // 000000002D10: 7EB60280
	v_mov_b32_e32 v155, 0                                      // 000000002D14: 7F360280
	v_mov_b32_e32 v92, 0                                       // 000000002D18: 7EB80280
	v_mov_b32_e32 v156, 0                                      // 000000002D1C: 7F380280
	v_mov_b32_e32 v93, 0                                       // 000000002D20: 7EBA0280
	v_mov_b32_e32 v157, 0                                      // 000000002D24: 7F3A0280
	v_mov_b32_e32 v94, 0                                       // 000000002D28: 7EBC0280
	v_mov_b32_e32 v158, 0                                      // 000000002D2C: 7F3C0280
	v_mov_b32_e32 v95, 0                                       // 000000002D30: 7EBE0280
	v_mov_b32_e32 v159, 0                                      // 000000002D34: 7F3E0280
	v_mov_b32_e32 v96, 0                                       // 000000002D38: 7EC00280
	v_mov_b32_e32 v160, 0                                      // 000000002D3C: 7F400280
	v_mov_b32_e32 v97, 0                                       // 000000002D40: 7EC20280
	v_mov_b32_e32 v161, 0                                      // 000000002D44: 7F420280
	v_mov_b32_e32 v98, 0                                       // 000000002D48: 7EC40280
	v_mov_b32_e32 v162, 0                                      // 000000002D4C: 7F440280
	v_mov_b32_e32 v99, 0                                       // 000000002D50: 7EC60280
	v_mov_b32_e32 v163, 0                                      // 000000002D54: 7F460280
	v_mov_b32_e32 v100, 0                                      // 000000002D58: 7EC80280
	v_mov_b32_e32 v164, 0                                      // 000000002D5C: 7F480280
	v_mov_b32_e32 v101, 0                                      // 000000002D60: 7ECA0280
	v_mov_b32_e32 v165, 0                                      // 000000002D64: 7F4A0280
	v_mov_b32_e32 v102, 0                                      // 000000002D68: 7ECC0280
	v_mov_b32_e32 v166, 0                                      // 000000002D6C: 7F4C0280
	v_mov_b32_e32 v103, 0                                      // 000000002D70: 7ECE0280
	v_mov_b32_e32 v167, 0                                      // 000000002D74: 7F4E0280
	v_mov_b32_e32 v104, 0                                      // 000000002D78: 7ED00280
	v_mov_b32_e32 v168, 0                                      // 000000002D7C: 7F500280
	v_mov_b32_e32 v105, 0                                      // 000000002D80: 7ED20280
	v_mov_b32_e32 v169, 0                                      // 000000002D84: 7F520280
	v_mov_b32_e32 v106, 0                                      // 000000002D88: 7ED40280
	v_mov_b32_e32 v170, 0                                      // 000000002D8C: 7F540280
	v_mov_b32_e32 v107, 0                                      // 000000002D90: 7ED60280
	v_mov_b32_e32 v171, 0                                      // 000000002D94: 7F560280
	v_mov_b32_e32 v108, 0                                      // 000000002D98: 7ED80280
	v_mov_b32_e32 v172, 0                                      // 000000002D9C: 7F580280
	v_mov_b32_e32 v109, 0                                      // 000000002DA0: 7EDA0280
	v_mov_b32_e32 v173, 0                                      // 000000002DA4: 7F5A0280
	v_mov_b32_e32 v110, 0                                      // 000000002DA8: 7EDC0280
	v_mov_b32_e32 v174, 0                                      // 000000002DAC: 7F5C0280
	v_mov_b32_e32 v111, 0                                      // 000000002DB0: 7EDE0280
	v_mov_b32_e32 v175, 0                                      // 000000002DB4: 7F5E0280
	v_mov_b32_e32 v112, 0                                      // 000000002DB8: 7EE00280
	v_mov_b32_e32 v176, 0                                      // 000000002DBC: 7F600280
	v_mov_b32_e32 v113, 0                                      // 000000002DC0: 7EE20280
	v_mov_b32_e32 v177, 0                                      // 000000002DC4: 7F620280
	v_mov_b32_e32 v114, 0                                      // 000000002DC8: 7EE40280
	v_mov_b32_e32 v178, 0                                      // 000000002DCC: 7F640280
	v_mov_b32_e32 v115, 0                                      // 000000002DD0: 7EE60280
	v_mov_b32_e32 v179, 0                                      // 000000002DD4: 7F660280
	v_mov_b32_e32 v116, 0                                      // 000000002DD8: 7EE80280
	v_mov_b32_e32 v180, 0                                      // 000000002DDC: 7F680280
	v_mov_b32_e32 v117, 0                                      // 000000002DE0: 7EEA0280
	v_mov_b32_e32 v181, 0                                      // 000000002DE4: 7F6A0280
	v_mov_b32_e32 v118, 0                                      // 000000002DE8: 7EEC0280
	v_mov_b32_e32 v182, 0                                      // 000000002DEC: 7F6C0280
	v_mov_b32_e32 v119, 0                                      // 000000002DF0: 7EEE0280
	v_mov_b32_e32 v183, 0                                      // 000000002DF4: 7F6E0280
	v_mov_b32_e32 v120, 0                                      // 000000002DF8: 7EF00280
	v_mov_b32_e32 v184, 0                                      // 000000002DFC: 7F700280
	v_mov_b32_e32 v121, 0                                      // 000000002E00: 7EF20280
	v_mov_b32_e32 v185, 0                                      // 000000002E04: 7F720280
	v_mov_b32_e32 v122, 0                                      // 000000002E08: 7EF40280
	v_mov_b32_e32 v186, 0                                      // 000000002E0C: 7F740280
	v_mov_b32_e32 v123, 0                                      // 000000002E10: 7EF60280
	v_mov_b32_e32 v187, 0                                      // 000000002E14: 7F760280
	v_mov_b32_e32 v124, 0                                      // 000000002E18: 7EF80280
	v_mov_b32_e32 v188, 0                                      // 000000002E1C: 7F780280
	v_mov_b32_e32 v125, 0                                      // 000000002E20: 7EFA0280
	v_mov_b32_e32 v189, 0                                      // 000000002E24: 7F7A0280
	v_mov_b32_e32 v126, 0                                      // 000000002E28: 7EFC0280
	v_mov_b32_e32 v190, 0                                      // 000000002E2C: 7F7C0280
	v_mov_b32_e32 v127, 0                                      // 000000002E30: 7EFE0280
	v_mov_b32_e32 v191, 0                                      // 000000002E34: 7F7E0280
	v_mov_b32_e32 v128, 0                                      // 000000002E38: 7F000280
	v_mov_b32_e32 v192, 0                                      // 000000002E3C: 7F800280
	v_mov_b32_e32 v129, 0                                      // 000000002E40: 7F020280
	v_mov_b32_e32 v193, 0                                      // 000000002E44: 7F820280
	v_mov_b32_e32 v130, 0                                      // 000000002E48: 7F040280
	v_mov_b32_e32 v194, 0                                      // 000000002E4C: 7F840280
	v_mov_b32_e32 v131, 0                                      // 000000002E50: 7F060280
	v_mov_b32_e32 v195, 0                                      // 000000002E54: 7F860280
	v_mov_b32_e32 v132, 0                                      // 000000002E58: 7F080280
	v_mov_b32_e32 v196, 0                                      // 000000002E5C: 7F880280
	v_mov_b32_e32 v133, 0                                      // 000000002E60: 7F0A0280
	v_mov_b32_e32 v197, 0                                      // 000000002E64: 7F8A0280
	v_mov_b32_e32 v134, 0                                      // 000000002E68: 7F0C0280
	v_mov_b32_e32 v198, 0                                      // 000000002E6C: 7F8C0280
	v_mov_b32_e32 v135, 0                                      // 000000002E70: 7F0E0280
	v_mov_b32_e32 v199, 0                                      // 000000002E74: 7F8E0280
	v_mov_b32_e32 v136, 0                                      // 000000002E78: 7F100280
	v_mov_b32_e32 v200, 0                                      // 000000002E7C: 7F900280
	v_mov_b32_e32 v137, 0                                      // 000000002E80: 7F120280
	v_mov_b32_e32 v201, 0                                      // 000000002E84: 7F920280
	v_mov_b32_e32 v138, 0                                      // 000000002E88: 7F140280
	v_mov_b32_e32 v202, 0                                      // 000000002E8C: 7F940280
	v_mov_b32_e32 v139, 0                                      // 000000002E90: 7F160280
	v_mov_b32_e32 v203, 0                                      // 000000002E94: 7F960280
	v_mov_b32_e32 v140, 0                                      // 000000002E98: 7F180280
	v_mov_b32_e32 v204, 0                                      // 000000002E9C: 7F980280
	v_mov_b32_e32 v141, 0                                      // 000000002EA0: 7F1A0280
	v_mov_b32_e32 v205, 0                                      // 000000002EA4: 7F9A0280
	v_mov_b32_e32 v142, 0                                      // 000000002EA8: 7F1C0280
	v_mov_b32_e32 v206, 0                                      // 000000002EAC: 7F9C0280
	v_mov_b32_e32 v143, 0                                      // 000000002EB0: 7F1E0280
	v_mov_b32_e32 v207, 0                                      // 000000002EB4: 7F9E0280
	s_mul_i32 s60, s2, 0x80                                    // 000000002EB8: 923CFF02 00000080
	s_cmp_eq_u32 s88, 0                                        // 000000002EC0: BF068058
	s_cselect_b32 s61, 1, 4                                    // 000000002EC4: 853D8481
	s_mul_i32 s60, s60, s61                                    // 000000002EC8: 923C3D3C
	s_mov_b32 s90, s8                                          // 000000002ECC: BEDA0008
	s_mov_b32 s91, s9                                          // 000000002ED0: BEDB0009
	s_add_u32 s8, s60, s8                                      // 000000002ED4: 8008083C
	s_addc_u32 s9, 0, s9                                       // 000000002ED8: 82090980
	v_lshrrev_b32_e32 v4, 4, v0                                // 000000002EDC: 20080084
	v_mul_lo_u32 v20, 34, v4                                   // 000000002EE0: D2850014 000208A2
	v_and_b32_e32 v4, 15, v0                                   // 000000002EE8: 2608008F
	v_mul_lo_u32 v5, 2, v4                                     // 000000002EEC: D2850005 00020882
	v_add_u32_e32 v20, v5, v20                                 // 000000002EF4: 68282905
	s_mul_i32 s60, s7, 0x88                                    // 000000002EF8: 923CFF07 00000088
	v_add_u32_e32 v20, s60, v20                                // 000000002F00: 6828283C
	v_lshlrev_b32_e32 v20, 2, v20                              // 000000002F04: 24282882
	v_and_b32_e32 v4, 31, v0                                   // 000000002F08: 2608009F
	v_lshrrev_b32_e32 v4, 1, v4                                // 000000002F0C: 20080881
	v_mul_lo_u32 v21, 34, v4                                   // 000000002F10: D2850015 000208A2
	v_lshrrev_b32_e32 v4, 5, v0                                // 000000002F18: 20080085
	v_mul_lo_u32 v4, 8, v4                                     // 000000002F1C: D2850004 00020888
	v_add_u32_e32 v21, v21, v4                                 // 000000002F24: 682A0915
	v_and_b32_e32 v5, 1, v0                                    // 000000002F28: 260A0081
	v_add_u32_e32 v21, v5, v21                                 // 000000002F2C: 682A2B05
	s_mul_i32 s60, s7, 2                                       // 000000002F30: 923C8207
	v_add_u32_e32 v21, s60, v21                                // 000000002F34: 682A2A3C
	v_lshlrev_b32_e32 v21, 2, v21                              // 000000002F38: 242A2A82
	s_mul_i32 s60, s7, 0x1020                                  // 000000002F3C: 923CFF07 00001020
	s_add_u32 s48, 0, s60                                      // 000000002F44: 80303C80
	s_add_u32 s49, 0x4080, s48                                 // 000000002F48: 803130FF 00004080
	s_add_u32 s50, 0x4080, s49                                 // 000000002F50: 803231FF 00004080
	v_lshrrev_b32_e32 v4, 4, v0                                // 000000002F58: 20080084
	v_lshlrev_b32_e32 v5, 2, v4                                // 000000002F5C: 240A0882
	v_and_b32_e32 v4, 15, v0                                   // 000000002F60: 2608008F
	v_lshrrev_b32_e32 v6, 2, v4                                // 000000002F64: 200C0882
	v_lshlrev_b32_e32 v6, 5, v6                                // 000000002F68: 240C0C85
	v_add_u32_e32 v5, v6, v5                                   // 000000002F6C: 680A0B06
	v_and_b32_e32 v4, 3, v0                                    // 000000002F70: 26080083
	v_mul_u32_u24_e32 v6, 0x408, v4                            // 000000002F74: 100C08FF 00000408
	v_add_u32_e32 v5, v6, v5                                   // 000000002F7C: 680A0B06
	v_lshlrev_b32_e32 v2, 2, v5                                // 000000002F80: 24040A82
	s_waitcnt lgkmcnt(0)                                       // 000000002F84: BF8CC07F
	s_mul_i32 s60, s2, 0x80                                    // 000000002F88: 923CFF02 00000080
	s_mul_i32 s60, s60, s69                                    // 000000002F90: 923C453C
	s_mul_i32 s61, s5, s72                                     // 000000002F94: 923D4805
	s_add_u32 s60, s61, s60                                    // 000000002F98: 803C3C3D
	s_add_u32 s24, s60, s24                                    // 000000002F9C: 8018183C
	s_addc_u32 s25, 0, s25                                     // 000000002FA0: 82191980
	s_lshr_b32 s60, s64, s88                                   // 000000002FA4: 8F3C5840
	s_mul_i32 s60, s4, s60                                     // 000000002FA8: 923C3C04
	s_lshr_b32 s60, s60, 7                                     // 000000002FAC: 8F3C873C
	s_mul_i32 s60, s60, 0x800                                  // 000000002FB0: 923CFF3C 00000800
	s_add_u32 s24, s60, s24                                    // 000000002FB8: 8018183C
	s_addc_u32 s25, 0, s25                                     // 000000002FBC: 82191980
	s_lshr_b32 s60, s69, s88                                   // 000000002FC0: 8F3C5845
	s_mul_i32 s60, s4, s60                                     // 000000002FC4: 923C3C04
	s_add_u32 s20, s60, s20                                    // 000000002FC8: 8014143C
	s_addc_u32 s21, 0, s21                                     // 000000002FCC: 82151580
	s_mul_i32 s60, s7, 16                                      // 000000002FD0: 923C9007
	s_mul_i32 s60, s60, s69                                    // 000000002FD4: 923C453C
	v_lshlrev_b32_e32 v78, 4, v0                               // 000000002FD8: 249C0084
	v_add_u32_e32 v78, s60, v78                                // 000000002FDC: 689C9C3C
	s_mul_i32 s60, 64, s69                                     // 000000002FE0: 923C45C0
	v_add_u32_e32 v79, s60, v78                                // 000000002FE4: 689E9C3C
	s_mov_b32 s84, s24                                         // 000000002FE8: BED40018
	s_mov_b32 s85, s25                                         // 000000002FEC: BED50019
	s_mov_b32 s86, s26                                         // 000000002FF0: BED6001A
	s_mov_b32 s87, s27                                         // 000000002FF4: BED7001B
	s_mul_i32 s60, s69, s65                                    // 000000002FF8: 923C4145
	s_add_u32 s84, s60, s84                                    // 000000002FFC: 8054543C
	s_addc_u32 s85, 0, s85                                     // 000000003000: 82555580
	s_lshr_b32 s60, s64, 7                                     // 000000003004: 8F3C8740
	s_mul_i32 s61, s60, 4                                      // 000000003008: 923D843C
	v_and_b32_e32 v22, 15, v0                                  // 00000000300C: 262C008F
	v_mul_lo_u32 v22, v22, s61                                 // 000000003010: D2850016 00007B16
	s_lshr_b32 s60, s65, 7                                     // 000000003018: 8F3C8741
	s_mul_i32 s60, s60, s61                                    // 00000000301C: 923C3D3C
	v_add_u32_e64 v23, v22, s60                                // 000000003020: D1340017 00007916
	s_mul_i32 s60, s2, 1                                       // 000000003028: 923C8102
	s_mul_i32 s60, s60, s61                                    // 00000000302C: 923C3D3C
	s_mul_i32 s61, s5, s74                                     // 000000003030: 923D4A05
	s_add_u32 s61, s61, s60                                    // 000000003034: 803D3C3D
	s_add_u32 s32, s61, s32                                    // 000000003038: 8020203D
	s_addc_u32 s33, 0, s33                                     // 00000000303C: 82212180
	s_lshr_b32 s60, s64, 7                                     // 000000003040: 8F3C8740
	s_lshr_b32 s60, s60, s88                                   // 000000003044: 8F3C583C
	s_mul_i32 s60, s4, s60                                     // 000000003048: 923C3C04
	s_mul_i32 s61, s60, 4                                      // 00000000304C: 923D843C
	s_add_u32 s32, s61, s32                                    // 000000003050: 8020203D
	s_addc_u32 s33, 0, s33                                     // 000000003054: 82212180
	s_lshl_b32 s62, s66, 2                                     // 000000003058: 8E3E8242
	s_mul_i32 s62, s60, s62                                    // 00000000305C: 923E3E3C
	s_add_u32 s28, s62, s28                                    // 000000003060: 801C1C3E
	s_addc_u32 s29, 0, s29                                     // 000000003064: 821D1D80
	s_mov_b32 s4, 4                                            // 000000003068: BE840084
	s_mov_b32 s57, 0x80                                        // 00000000306C: BEB900FF 00000080
	s_mov_b32 s58, 0x800                                       // 000000003074: BEBA00FF 00000800
	s_mov_b32 s83, s58                                         // 00000000307C: BED3003A
	s_mov_b32 s52, 0x7060302                                   // 000000003080: BEB400FF 07060302
	s_mov_b32 s53, 0x400                                       // 000000003088: BEB500FF 00000400
	s_mov_b32 s54, 0x40100                                     // 000000003090: BEB600FF 00040100
	s_mov_b32 s55, 0x4020100                                   // 000000003098: BEB700FF 04020100
	s_mov_b32 s6, 0x3fb8aa3b                                   // 0000000030A0: BE8600FF 3FB8AA3B
	s_mov_b32 s78, 0xbd92220c                                  // 0000000030A8: BECE00FF BD92220C
	s_mov_b32 s79, 0xbd92220c                                  // 0000000030B0: BECF00FF BD92220C
	s_mov_b32 m0, s48                                          // 0000000030B8: BEFC0030
	v_mov_b32_e32 v1, 0xbfcc4231                               // 0000000030BC: 7E0202FF BFCC4231
	v_mov_b32_e32 v17, 0xffff0000                              // 0000000030C4: 7E2202FF FFFF0000
	v_mov_b32_e32 v18, 0x7fff0000                              // 0000000030CC: 7E2402FF 7FFF0000
	v_mov_b32_e32 v19, 0x7fff                                  // 0000000030D4: 7E2602FF 00007FFF
	s_waitcnt vmcnt(0) expcnt(0) lgkmcnt(0)                    // 0000000030DC: BF8C0000
	v_lshrrev_b32_e32 v4, 5, v0                                // 0000000030E0: 20080085
	v_xor_b32_e32 v5, 1, v4                                    // 0000000030E4: 2A0A0881
	v_readlane_b32 s82, v3, 0                                  // 0000000030E8: D2890052 00010103
	s_and_b32 s82, s82, 0xffffff                               // 0000000030F0: 8652FF52 00FFFFFF
	v_mul_lo_u32 v6, v5, s82                                   // 0000000030F8: D2850006 0000A505
	v_readlane_b32 s82, v3, 1                                  // 000000003100: D2890052 00010303
	s_and_b32 s82, s82, 0xffffff                               // 000000003108: 8652FF52 00FFFFFF
	v_mul_lo_u32 v7, v4, s82                                   // 000000003110: D2850007 0000A504
	v_add_u32_e32 v62, v6, v7                                  // 000000003118: 687C0F06
	v_mul_lo_u32 v62, v62, s68                                 // 00000000311C: D285003E 0000893E
	v_readlane_b32 s82, v3, 2                                  // 000000003124: D2890052 00010503
	s_and_b32 s82, s82, 0xffffff                               // 00000000312C: 8652FF52 00FFFFFF
	v_mul_lo_u32 v6, v5, s82                                   // 000000003134: D2850006 0000A505
	v_readlane_b32 s82, v3, 3                                  // 00000000313C: D2890052 00010703
	s_and_b32 s82, s82, 0xffffff                               // 000000003144: 8652FF52 00FFFFFF
	v_mul_lo_u32 v7, v4, s82                                   // 00000000314C: D2850007 0000A504
	v_add_u32_e32 v63, v6, v7                                  // 000000003154: 687E0F06
	v_mul_lo_u32 v63, v63, s68                                 // 000000003158: D285003F 0000893F
	v_readlane_b32 s82, v3, 4                                  // 000000003160: D2890052 00010903
	s_and_b32 s82, s82, 0xffffff                               // 000000003168: 8652FF52 00FFFFFF
	v_mul_lo_u32 v6, v5, s82                                   // 000000003170: D2850006 0000A505
	v_readlane_b32 s82, v3, 5                                  // 000000003178: D2890052 00010B03
	s_and_b32 s82, s82, 0xffffff                               // 000000003180: 8652FF52 00FFFFFF
	v_mul_lo_u32 v7, v4, s82                                   // 000000003188: D2850007 0000A504
	v_add_u32_e32 v64, v6, v7                                  // 000000003190: 68800F06
	v_mul_lo_u32 v64, v64, s68                                 // 000000003194: D2850040 00008940
	v_readlane_b32 s82, v3, 6                                  // 00000000319C: D2890052 00010D03
	s_and_b32 s82, s82, 0xffffff                               // 0000000031A4: 8652FF52 00FFFFFF
	v_mul_lo_u32 v6, v5, s82                                   // 0000000031AC: D2850006 0000A505
	v_readlane_b32 s82, v3, 7                                  // 0000000031B4: D2890052 00010F03
	s_and_b32 s82, s82, 0xffffff                               // 0000000031BC: 8652FF52 00FFFFFF
	v_mul_lo_u32 v7, v4, s82                                   // 0000000031C4: D2850007 0000A504
	v_add_u32_e32 v65, v6, v7                                  // 0000000031CC: 68820F06
	v_mul_lo_u32 v65, v65, s68                                 // 0000000031D0: D2850041 00008941
	v_readlane_b32 s82, v3, 8                                  // 0000000031D8: D2890052 00011103
	s_and_b32 s82, s82, 0xffffff                               // 0000000031E0: 8652FF52 00FFFFFF
	v_mul_lo_u32 v6, v5, s82                                   // 0000000031E8: D2850006 0000A505
	v_readlane_b32 s82, v3, 9                                  // 0000000031F0: D2890052 00011303
	s_and_b32 s82, s82, 0xffffff                               // 0000000031F8: 8652FF52 00FFFFFF
	v_mul_lo_u32 v7, v4, s82                                   // 000000003200: D2850007 0000A504
	v_add_u32_e32 v66, v6, v7                                  // 000000003208: 68840F06
	v_mul_lo_u32 v66, v66, s68                                 // 00000000320C: D2850042 00008942
	v_readlane_b32 s82, v3, 10                                 // 000000003214: D2890052 00011503
	s_and_b32 s82, s82, 0xffffff                               // 00000000321C: 8652FF52 00FFFFFF
	v_mul_lo_u32 v6, v5, s82                                   // 000000003224: D2850006 0000A505
	v_readlane_b32 s82, v3, 11                                 // 00000000322C: D2890052 00011703
	s_and_b32 s82, s82, 0xffffff                               // 000000003234: 8652FF52 00FFFFFF
	v_mul_lo_u32 v7, v4, s82                                   // 00000000323C: D2850007 0000A504
	v_add_u32_e32 v67, v6, v7                                  // 000000003244: 68860F06
	v_mul_lo_u32 v67, v67, s68                                 // 000000003248: D2850043 00008943
	v_readlane_b32 s82, v3, 12                                 // 000000003250: D2890052 00011903
	s_and_b32 s82, s82, 0xffffff                               // 000000003258: 8652FF52 00FFFFFF
	v_mul_lo_u32 v6, v5, s82                                   // 000000003260: D2850006 0000A505
	v_readlane_b32 s82, v3, 13                                 // 000000003268: D2890052 00011B03
	s_and_b32 s82, s82, 0xffffff                               // 000000003270: 8652FF52 00FFFFFF
	v_mul_lo_u32 v7, v4, s82                                   // 000000003278: D2850007 0000A504
	v_add_u32_e32 v68, v6, v7                                  // 000000003280: 68880F06
	v_mul_lo_u32 v68, v68, s68                                 // 000000003284: D2850044 00008944
	v_readlane_b32 s82, v3, 14                                 // 00000000328C: D2890052 00011D03
	s_and_b32 s82, s82, 0xffffff                               // 000000003294: 8652FF52 00FFFFFF
	v_mul_lo_u32 v6, v5, s82                                   // 00000000329C: D2850006 0000A505
	v_readlane_b32 s82, v3, 15                                 // 0000000032A4: D2890052 00011F03
	s_and_b32 s82, s82, 0xffffff                               // 0000000032AC: 8652FF52 00FFFFFF
	v_mul_lo_u32 v7, v4, s82                                   // 0000000032B4: D2850007 0000A504
	v_add_u32_e32 v69, v6, v7                                  // 0000000032BC: 688A0F06
	v_mul_lo_u32 v69, v69, s68                                 // 0000000032C0: D2850045 00008945
	v_readlane_b32 s82, v3, 16                                 // 0000000032C8: D2890052 00012103
	s_and_b32 s82, s82, 0xffffff                               // 0000000032D0: 8652FF52 00FFFFFF
	v_mul_lo_u32 v6, v5, s82                                   // 0000000032D8: D2850006 0000A505
	v_readlane_b32 s82, v3, 17                                 // 0000000032E0: D2890052 00012303
	s_and_b32 s82, s82, 0xffffff                               // 0000000032E8: 8652FF52 00FFFFFF
	v_mul_lo_u32 v7, v4, s82                                   // 0000000032F0: D2850007 0000A504
	v_add_u32_e32 v70, v6, v7                                  // 0000000032F8: 688C0F06
	v_mul_lo_u32 v70, v70, s68                                 // 0000000032FC: D2850046 00008946
	v_readlane_b32 s82, v3, 18                                 // 000000003304: D2890052 00012503
	s_and_b32 s82, s82, 0xffffff                               // 00000000330C: 8652FF52 00FFFFFF
	v_mul_lo_u32 v6, v5, s82                                   // 000000003314: D2850006 0000A505
	v_readlane_b32 s82, v3, 19                                 // 00000000331C: D2890052 00012703
	s_and_b32 s82, s82, 0xffffff                               // 000000003324: 8652FF52 00FFFFFF
	v_mul_lo_u32 v7, v4, s82                                   // 00000000332C: D2850007 0000A504
	v_add_u32_e32 v71, v6, v7                                  // 000000003334: 688E0F06
	v_mul_lo_u32 v71, v71, s68                                 // 000000003338: D2850047 00008947
	v_readlane_b32 s82, v3, 20                                 // 000000003340: D2890052 00012903
	s_and_b32 s82, s82, 0xffffff                               // 000000003348: 8652FF52 00FFFFFF
	v_mul_lo_u32 v6, v5, s82                                   // 000000003350: D2850006 0000A505
	v_readlane_b32 s82, v3, 21                                 // 000000003358: D2890052 00012B03
	s_and_b32 s82, s82, 0xffffff                               // 000000003360: 8652FF52 00FFFFFF
	v_mul_lo_u32 v7, v4, s82                                   // 000000003368: D2850007 0000A504
	v_add_u32_e32 v72, v6, v7                                  // 000000003370: 68900F06
	v_mul_lo_u32 v72, v72, s68                                 // 000000003374: D2850048 00008948
	v_readlane_b32 s82, v3, 22                                 // 00000000337C: D2890052 00012D03
	s_and_b32 s82, s82, 0xffffff                               // 000000003384: 8652FF52 00FFFFFF
	v_mul_lo_u32 v6, v5, s82                                   // 00000000338C: D2850006 0000A505
	v_readlane_b32 s82, v3, 23                                 // 000000003394: D2890052 00012F03
	s_and_b32 s82, s82, 0xffffff                               // 00000000339C: 8652FF52 00FFFFFF
	v_mul_lo_u32 v7, v4, s82                                   // 0000000033A4: D2850007 0000A504
	v_add_u32_e32 v73, v6, v7                                  // 0000000033AC: 68920F06
	v_mul_lo_u32 v73, v73, s68                                 // 0000000033B0: D2850049 00008949
	v_readlane_b32 s82, v3, 24                                 // 0000000033B8: D2890052 00013103
	s_and_b32 s82, s82, 0xffffff                               // 0000000033C0: 8652FF52 00FFFFFF
	v_mul_lo_u32 v6, v5, s82                                   // 0000000033C8: D2850006 0000A505
	v_readlane_b32 s82, v3, 25                                 // 0000000033D0: D2890052 00013303
	s_and_b32 s82, s82, 0xffffff                               // 0000000033D8: 8652FF52 00FFFFFF
	v_mul_lo_u32 v7, v4, s82                                   // 0000000033E0: D2850007 0000A504
	v_add_u32_e32 v74, v6, v7                                  // 0000000033E8: 68940F06
	v_mul_lo_u32 v74, v74, s68                                 // 0000000033EC: D285004A 0000894A
	v_readlane_b32 s82, v3, 26                                 // 0000000033F4: D2890052 00013503
	s_and_b32 s82, s82, 0xffffff                               // 0000000033FC: 8652FF52 00FFFFFF
	v_mul_lo_u32 v6, v5, s82                                   // 000000003404: D2850006 0000A505
	v_readlane_b32 s82, v3, 27                                 // 00000000340C: D2890052 00013703
	s_and_b32 s82, s82, 0xffffff                               // 000000003414: 8652FF52 00FFFFFF
	v_mul_lo_u32 v7, v4, s82                                   // 00000000341C: D2850007 0000A504
	v_add_u32_e32 v75, v6, v7                                  // 000000003424: 68960F06
	v_mul_lo_u32 v75, v75, s68                                 // 000000003428: D285004B 0000894B
	v_readlane_b32 s82, v3, 28                                 // 000000003430: D2890052 00013903
	s_and_b32 s82, s82, 0xffffff                               // 000000003438: 8652FF52 00FFFFFF
	v_mul_lo_u32 v6, v5, s82                                   // 000000003440: D2850006 0000A505
	v_readlane_b32 s82, v3, 29                                 // 000000003448: D2890052 00013B03
	s_and_b32 s82, s82, 0xffffff                               // 000000003450: 8652FF52 00FFFFFF
	v_mul_lo_u32 v7, v4, s82                                   // 000000003458: D2850007 0000A504
	v_add_u32_e32 v76, v6, v7                                  // 000000003460: 68980F06
	v_mul_lo_u32 v76, v76, s68                                 // 000000003464: D285004C 0000894C
	v_readlane_b32 s82, v3, 30                                 // 00000000346C: D2890052 00013D03
	s_and_b32 s82, s82, 0xffffff                               // 000000003474: 8652FF52 00FFFFFF
	v_mul_lo_u32 v6, v5, s82                                   // 00000000347C: D2850006 0000A505
	v_readlane_b32 s82, v3, 31                                 // 000000003484: D2890052 00013F03
	s_and_b32 s82, s82, 0xffffff                               // 00000000348C: 8652FF52 00FFFFFF
	v_mul_lo_u32 v7, v4, s82                                   // 000000003494: D2850007 0000A504
	v_add_u32_e32 v77, v6, v7                                  // 00000000349C: 689A0F06
	v_mul_lo_u32 v77, v77, s68                                 // 0000000034A0: D285004D 0000894D
	v_and_b32_e32 v4, 31, v0                                   // 0000000034A8: 2608009F
	v_lshlrev_b32_e32 v4, 2, v4                                // 0000000034AC: 24080882
	v_add_u32_e32 v62, v62, v4                                 // 0000000034B0: 687C093E
	v_add_u32_e32 v63, v63, v4                                 // 0000000034B4: 687E093F
	v_add_u32_e32 v64, v64, v4                                 // 0000000034B8: 68800940
	v_add_u32_e32 v65, v65, v4                                 // 0000000034BC: 68820941
	v_add_u32_e32 v66, v66, v4                                 // 0000000034C0: 68840942
	v_add_u32_e32 v67, v67, v4                                 // 0000000034C4: 68860943
	v_add_u32_e32 v68, v68, v4                                 // 0000000034C8: 68880944
	v_add_u32_e32 v69, v69, v4                                 // 0000000034CC: 688A0945
	v_add_u32_e32 v70, v70, v4                                 // 0000000034D0: 688C0946
	v_add_u32_e32 v71, v71, v4                                 // 0000000034D4: 688E0947
	v_add_u32_e32 v72, v72, v4                                 // 0000000034D8: 68900948
	v_add_u32_e32 v73, v73, v4                                 // 0000000034DC: 68920949
	v_add_u32_e32 v74, v74, v4                                 // 0000000034E0: 6894094A
	v_add_u32_e32 v75, v75, v4                                 // 0000000034E4: 6896094B
	v_add_u32_e32 v76, v76, v4                                 // 0000000034E8: 6898094C
	v_add_u32_e32 v77, v77, v4                                 // 0000000034EC: 689A094D
	v_and_b32_e32 v30, 0xffffff, v30                           // 0000000034F0: 263C3CFF 00FFFFFF
	v_lshlrev_b32_e32 v30, 2, v30                              // 0000000034F8: 243C3C82
	v_and_b32_e32 v31, 0xffffff, v31                           // 0000000034FC: 263E3EFF 00FFFFFF
	v_lshlrev_b32_e32 v31, 2, v31                              // 000000003504: 243E3E82
	v_and_b32_e32 v32, 0xffffff, v32                           // 000000003508: 264040FF 00FFFFFF
	v_lshlrev_b32_e32 v32, 2, v32                              // 000000003510: 24404082
	v_and_b32_e32 v33, 0xffffff, v33                           // 000000003514: 264242FF 00FFFFFF
	v_lshlrev_b32_e32 v33, 2, v33                              // 00000000351C: 24424282
	v_and_b32_e32 v34, 0xffffff, v34                           // 000000003520: 264444FF 00FFFFFF
	v_lshlrev_b32_e32 v34, 2, v34                              // 000000003528: 24444482
	v_and_b32_e32 v35, 0xffffff, v35                           // 00000000352C: 264646FF 00FFFFFF
	v_lshlrev_b32_e32 v35, 2, v35                              // 000000003534: 24464682
	v_and_b32_e32 v36, 0xffffff, v36                           // 000000003538: 264848FF 00FFFFFF
	v_lshlrev_b32_e32 v36, 2, v36                              // 000000003540: 24484882
	v_and_b32_e32 v37, 0xffffff, v37                           // 000000003544: 264A4AFF 00FFFFFF
	v_lshlrev_b32_e32 v37, 2, v37                              // 00000000354C: 244A4A82
	s_lshl_b32 s3, s66, 2                                      // 000000003550: 8E038242
	buffer_load_dword v62, s[20:23], 0 offen lds               // 000000003554: E0511000 8005003E
	s_add_u32 m0, 0x100, s48                                   // 00000000355C: 807C30FF 00000100
	buffer_load_dword v63, s[20:23], 0 offen lds               // 000000003564: E0511000 8005003F
	s_add_u32 m0, 0x200, s48                                   // 00000000356C: 807C30FF 00000200
	buffer_load_dword v64, s[20:23], 0 offen lds               // 000000003574: E0511000 80050040
	s_add_u32 m0, 0x300, s48                                   // 00000000357C: 807C30FF 00000300
	buffer_load_dword v65, s[20:23], 0 offen lds               // 000000003584: E0511000 80050041
	s_add_u32 m0, 0x400, s48                                   // 00000000358C: 807C30FF 00000400
	buffer_load_dword v66, s[20:23], 0 offen lds               // 000000003594: E0511000 80050042
	s_add_u32 m0, 0x500, s48                                   // 00000000359C: 807C30FF 00000500
	buffer_load_dword v67, s[20:23], 0 offen lds               // 0000000035A4: E0511000 80050043
	s_add_u32 m0, 0x600, s48                                   // 0000000035AC: 807C30FF 00000600
	buffer_load_dword v68, s[20:23], 0 offen lds               // 0000000035B4: E0511000 80050044
	s_add_u32 m0, 0x700, s48                                   // 0000000035BC: 807C30FF 00000700
	buffer_load_dword v69, s[20:23], 0 offen lds               // 0000000035C4: E0511000 80050045
	s_add_u32 m0, 0x800, s48                                   // 0000000035CC: 807C30FF 00000800
	buffer_load_dword v70, s[20:23], 0 offen lds               // 0000000035D4: E0511000 80050046
	s_add_u32 m0, 0x900, s48                                   // 0000000035DC: 807C30FF 00000900
	buffer_load_dword v71, s[20:23], 0 offen lds               // 0000000035E4: E0511000 80050047
	s_add_u32 m0, 0xa00, s48                                   // 0000000035EC: 807C30FF 00000A00
	buffer_load_dword v72, s[20:23], 0 offen lds               // 0000000035F4: E0511000 80050048
	s_add_u32 m0, 0xb00, s48                                   // 0000000035FC: 807C30FF 00000B00
	buffer_load_dword v73, s[20:23], 0 offen lds               // 000000003604: E0511000 80050049
	s_add_u32 m0, 0xc00, s48                                   // 00000000360C: 807C30FF 00000C00
	buffer_load_dword v74, s[20:23], 0 offen lds               // 000000003614: E0511000 8005004A
	s_add_u32 m0, 0xd00, s48                                   // 00000000361C: 807C30FF 00000D00
	buffer_load_dword v75, s[20:23], 0 offen lds               // 000000003624: E0511000 8005004B
	s_add_u32 m0, 0xe00, s48                                   // 00000000362C: 807C30FF 00000E00
	buffer_load_dword v76, s[20:23], 0 offen lds               // 000000003634: E0511000 8005004C
	s_add_u32 m0, 0xf00, s48                                   // 00000000363C: 807C30FF 00000F00
	buffer_load_dword v77, s[20:23], 0 offen lds               // 000000003644: E0511000 8005004D
	s_add_u32 m0, 0, s49                                       // 00000000364C: 807C3180
	s_add_u32 s20, s57, s20                                    // 000000003650: 80141439
	s_addc_u32 s21, 0, s21                                     // 000000003654: 82151580
	buffer_load_dword v38, v30, s[28:31], 0 offen              // 000000003658: E0501000 8007261E
	buffer_load_dword v39, v31, s[28:31], 0 offen              // 000000003660: E0501000 8007271F
	buffer_load_dword v40, v32, s[28:31], 0 offen              // 000000003668: E0501000 80072820
	buffer_load_dword v41, v33, s[28:31], 0 offen              // 000000003670: E0501000 80072921
	buffer_load_dword v42, v34, s[28:31], 0 offen              // 000000003678: E0501000 80072A22
	buffer_load_dword v43, v35, s[28:31], 0 offen              // 000000003680: E0501000 80072B23
	buffer_load_dword v44, v36, s[28:31], 0 offen              // 000000003688: E0501000 80072C24
	buffer_load_dword v45, v37, s[28:31], 0 offen              // 000000003690: E0501000 80072D25
	s_add_u32 s28, s3, s28                                     // 000000003698: 801C1C03
	s_addc_u32 s29, 0, s29                                     // 00000000369C: 821D1D80
	buffer_load_dwordx4 a[128:131], v78, s[24:27], 0 offen     // 0000000036A0: E05C1000 8086804E
	buffer_load_dwordx4 a[132:135], v78, s[24:27], 0 offen offset:1024// 0000000036A8: E05C1400 8086844E
	buffer_load_dwordx4 a[136:139], v79, s[24:27], 0 offen     // 0000000036B0: E05C1000 8086884F
	buffer_load_dwordx4 a[140:143], v79, s[24:27], 0 offen offset:1024// 0000000036B8: E05C1400 80868C4F
	s_add_u32 s24, s58, s24                                    // 0000000036C0: 8018183A
	s_addc_u32 s25, 0, s25                                     // 0000000036C4: 82191980
	buffer_load_dword v24, v22, s[32:35], 0 offen              // 0000000036C8: E0501000 80081816
	buffer_load_dword v62, s[20:23], 0 offen lds               // 0000000036D0: E0511000 8005003E
	s_add_u32 m0, 0x100, s49                                   // 0000000036D8: 807C31FF 00000100
	buffer_load_dword v63, s[20:23], 0 offen lds               // 0000000036E0: E0511000 8005003F
	s_add_u32 m0, 0x200, s49                                   // 0000000036E8: 807C31FF 00000200
	buffer_load_dword v64, s[20:23], 0 offen lds               // 0000000036F0: E0511000 80050040
	s_add_u32 m0, 0x300, s49                                   // 0000000036F8: 807C31FF 00000300
	buffer_load_dword v65, s[20:23], 0 offen lds               // 000000003700: E0511000 80050041
	s_add_u32 m0, 0x400, s49                                   // 000000003708: 807C31FF 00000400
	buffer_load_dword v66, s[20:23], 0 offen lds               // 000000003710: E0511000 80050042
	s_add_u32 m0, 0x500, s49                                   // 000000003718: 807C31FF 00000500
	;; [unrolled: 2-line block ×6, first 2 shown]
	buffer_load_dword v71, s[20:23], 0 offen lds               // 000000003760: E0511000 80050047
	s_add_u32 m0, 0xa00, s49                                   // 000000003768: 807C31FF 00000A00
	buffer_load_dword v72, s[20:23], 0 offen lds               // 000000003770: E0511000 80050048
	s_add_u32 m0, 0xb00, s49                                   // 000000003778: 807C31FF 00000B00
	buffer_load_dword v73, s[20:23], 0 offen lds               // 000000003780: E0511000 80050049
	s_add_u32 m0, 0xc00, s49                                   // 000000003788: 807C31FF 00000C00
	buffer_load_dword v74, s[20:23], 0 offen lds               // 000000003790: E0511000 8005004A
	s_add_u32 m0, 0xd00, s49                                   // 000000003798: 807C31FF 00000D00
	buffer_load_dword v75, s[20:23], 0 offen lds               // 0000000037A0: E0511000 8005004B
	s_add_u32 m0, 0xe00, s49                                   // 0000000037A8: 807C31FF 00000E00
	buffer_load_dword v76, s[20:23], 0 offen lds               // 0000000037B0: E0511000 8005004C
	s_add_u32 m0, 0xf00, s49                                   // 0000000037B8: 807C31FF 00000F00
	buffer_load_dword v77, s[20:23], 0 offen lds               // 0000000037C0: E0511000 8005004D
	s_add_u32 m0, 0, s50                                       // 0000000037C8: 807C3280
	s_add_u32 s20, s57, s20                                    // 0000000037CC: 80141439
	s_addc_u32 s21, 0, s21                                     // 0000000037D0: 82151580
	buffer_load_dword v46, v30, s[28:31], 0 offen              // 0000000037D4: E0501000 80072E1E
	buffer_load_dword v47, v31, s[28:31], 0 offen              // 0000000037DC: E0501000 80072F1F
	buffer_load_dword v48, v32, s[28:31], 0 offen              // 0000000037E4: E0501000 80073020
	buffer_load_dword v49, v33, s[28:31], 0 offen              // 0000000037EC: E0501000 80073121
	buffer_load_dword v50, v34, s[28:31], 0 offen              // 0000000037F4: E0501000 80073222
	buffer_load_dword v51, v35, s[28:31], 0 offen              // 0000000037FC: E0501000 80073323
	buffer_load_dword v52, v36, s[28:31], 0 offen              // 000000003804: E0501000 80073424
	buffer_load_dword v53, v37, s[28:31], 0 offen              // 00000000380C: E0501000 80073525
	s_add_u32 s28, s3, s28                                     // 000000003814: 801C1C03
	s_addc_u32 s29, 0, s29                                     // 000000003818: 821D1D80
	buffer_load_dwordx4 a[144:147], v78, s[84:87], 0 offen     // 00000000381C: E05C1000 8095904E
	buffer_load_dwordx4 a[148:151], v78, s[84:87], 0 offen offset:1024// 000000003824: E05C1400 8095944E
	buffer_load_dwordx4 a[152:155], v79, s[84:87], 0 offen     // 00000000382C: E05C1000 8095984F
	buffer_load_dwordx4 a[156:159], v79, s[84:87], 0 offen offset:1024// 000000003834: E05C1400 80959C4F
	s_add_u32 s84, s83, s84                                    // 00000000383C: 80545453
	s_addc_u32 s85, 0, s85                                     // 000000003840: 82555580
	buffer_load_dword v27, v23, s[32:35], 0 offen              // 000000003844: E0501000 80081B17
	s_add_u32 s32, s4, s32                                     // 00000000384C: 80202004
	s_addc_u32 s33, 0, s33                                     // 000000003850: 82212180
	s_waitcnt vmcnt(42)                                        // 000000003854: BF8C8F7A
	s_barrier                                                  // 000000003858: BF8A0000
	ds_read_b128 a[0:3], v2                                    // 00000000385C: DBFE0000 00000002
	ds_read_b128 a[4:7], v2 offset:64                          // 000000003864: DBFE0040 04000002
	ds_read_b128 a[8:11], v2 offset:512                        // 00000000386C: DBFE0200 08000002
	ds_read_b128 a[12:15], v2 offset:576                       // 000000003874: DBFE0240 0C000002
	ds_read_b128 a[16:19], v2 offset:1024                      // 00000000387C: DBFE0400 10000002
	ds_read_b128 a[20:23], v2 offset:1088                      // 000000003884: DBFE0440 14000002
	ds_read_b128 a[24:27], v2 offset:1536                      // 00000000388C: DBFE0600 18000002
	ds_read_b128 a[28:31], v2 offset:1600                      // 000000003894: DBFE0640 1C000002
	ds_read_b128 a[32:35], v2 offset:2048                      // 00000000389C: DBFE0800 20000002
	ds_read_b128 a[36:39], v2 offset:2112                      // 0000000038A4: DBFE0840 24000002
	ds_read_b128 a[40:43], v2 offset:2560                      // 0000000038AC: DBFE0A00 28000002
	ds_read_b128 a[44:47], v2 offset:2624                      // 0000000038B4: DBFE0A40 2C000002
	ds_read_b128 a[48:51], v2 offset:3072                      // 0000000038BC: DBFE0C00 30000002
	ds_read_b128 a[52:55], v2 offset:3136                      // 0000000038C4: DBFE0C40 34000002
	ds_read_b128 a[56:59], v2 offset:3584                      // 0000000038CC: DBFE0E00 38000002
	ds_read_b128 a[60:63], v2 offset:3648                      // 0000000038D4: DBFE0E40 3C000002
	s_cmp_lt_i32 s7, 2                                         // 0000000038DC: BF048207
	s_cbranch_scc0 label_2702                                  // 0000000038E0: BF842346

00000000000038e4 <label_03B9>:
	s_waitcnt vmcnt(29) lgkmcnt(0)                             // 0000000038E4: BF8C407D
	v_mul_f32_dpp v4, v24, v38 row_newbcast:0 row_mask:0xf bank_mask:0xf// 0000000038E8: 0A084CFA FF015018
	v_mfma_f32_16x16x32_fp8_fp8 v[8:11], a[128:129], a[0:1], 0 // 0000000038F0: D3F30008 1A020180
	buffer_load_dword v25, v22, s[32:35], 0 offen              // 0000000038F8: E0501000 80081916
	v_mfma_f32_16x16x32_fp8_fp8 v[8:11], a[130:131], a[2:3], v[8:11]// 000000003900: D3F30008 1C220582
	buffer_load_dwordx4 a[160:163], v78, s[24:27], 0 offen     // 000000003908: E05C1000 8086A04E
	v_mfma_f32_16x16x32_fp8_fp8 v[8:11], a[132:133], a[4:5], v[8:11]// 000000003910: D3F30008 1C220984
	v_mfma_f32_16x16x32_fp8_fp8 v[8:11], a[134:135], a[6:7], v[8:11]// 000000003918: D3F30008 1C220D86
	v_mfma_f32_16x16x32_fp8_fp8 v[12:15], a[136:137], a[0:1], 0// 000000003920: D3F3000C 1A020188
	v_mfma_f32_16x16x32_fp8_fp8 v[12:15], a[138:139], a[2:3], v[12:15]// 000000003928: D3F3000C 1C32058A
	buffer_load_dwordx4 a[164:167], v78, s[24:27], 0 offen offset:1024// 000000003930: E05C1400 8086A44E
	v_mfma_f32_16x16x32_fp8_fp8 v[12:15], a[140:141], a[4:5], v[12:15]// 000000003938: D3F3000C 1C32098C
	v_mfma_f32_16x16x32_fp8_fp8 v[12:15], a[142:143], a[6:7], v[12:15]// 000000003940: D3F3000C 1C320D8E
	v_fma_f32 v80, v8, v4, v80                                 // 000000003948: D1CB0050 05420908
	v_fma_f32 v81, v9, v4, v81                                 // 000000003950: D1CB0051 05460909
	v_fma_f32 v82, v10, v4, v82                                // 000000003958: D1CB0052 054A090A
	v_fma_f32 v83, v11, v4, v83                                // 000000003960: D1CB0053 054E090B
	v_mul_f32_dpp v6, v24, v39 row_newbcast:0 row_mask:0xf bank_mask:0xf// 000000003968: 0A0C4EFA FF015018
	v_mfma_f32_16x16x32_fp8_fp8 v[8:11], a[128:129], a[8:9], 0 // 000000003970: D3F30008 1A021180
	v_mfma_f32_16x16x32_fp8_fp8 v[8:11], a[130:131], a[10:11], v[8:11]// 000000003978: D3F30008 1C221582
	buffer_load_dwordx4 a[168:171], v79, s[24:27], 0 offen     // 000000003980: E05C1000 8086A84F
	v_mfma_f32_16x16x32_fp8_fp8 v[8:11], a[132:133], a[12:13], v[8:11]// 000000003988: D3F30008 1C221984
	v_mfma_f32_16x16x32_fp8_fp8 v[8:11], a[134:135], a[14:15], v[8:11]// 000000003990: D3F30008 1C221D86
	v_fma_f32 v112, v12, v4, v112                              // 000000003998: D1CB0070 05C2090C
	v_fma_f32 v113, v13, v4, v113                              // 0000000039A0: D1CB0071 05C6090D
	v_fma_f32 v114, v14, v4, v114                              // 0000000039A8: D1CB0072 05CA090E
	v_fma_f32 v115, v15, v4, v115                              // 0000000039B0: D1CB0073 05CE090F
	v_mfma_f32_16x16x32_fp8_fp8 v[12:15], a[136:137], a[8:9], 0// 0000000039B8: D3F3000C 1A021188
	v_mfma_f32_16x16x32_fp8_fp8 v[12:15], a[138:139], a[10:11], v[12:15]// 0000000039C0: D3F3000C 1C32158A
	buffer_load_dwordx4 a[172:175], v79, s[24:27], 0 offen offset:1024// 0000000039C8: E05C1400 8086AC4F
	buffer_load_dword v62, s[20:23], 0 offen lds               // 0000000039D0: E0511000 8005003E
	s_add_u32 m0, 0x100, s50                                   // 0000000039D8: 807C32FF 00000100
	v_mfma_f32_16x16x32_fp8_fp8 v[12:15], a[140:141], a[12:13], v[12:15]// 0000000039E0: D3F3000C 1C32198C
	v_mfma_f32_16x16x32_fp8_fp8 v[12:15], a[142:143], a[14:15], v[12:15]// 0000000039E8: D3F3000C 1C321D8E
	buffer_load_dword v63, s[20:23], 0 offen lds               // 0000000039F0: E0511000 8005003F
	s_add_u32 m0, 0x200, s50                                   // 0000000039F8: 807C32FF 00000200
	v_fma_f32 v84, v8, v6, v84                                 // 000000003A00: D1CB0054 05520D08
	v_fma_f32 v85, v9, v6, v85                                 // 000000003A08: D1CB0055 05560D09
	v_fma_f32 v86, v10, v6, v86                                // 000000003A10: D1CB0056 055A0D0A
	v_fma_f32 v87, v11, v6, v87                                // 000000003A18: D1CB0057 055E0D0B
	v_mul_f32_dpp v4, v24, v40 row_newbcast:0 row_mask:0xf bank_mask:0xf// 000000003A20: 0A0850FA FF015018
	v_mfma_f32_16x16x32_fp8_fp8 v[8:11], a[128:129], a[16:17], 0// 000000003A28: D3F30008 1A022180
	v_mfma_f32_16x16x32_fp8_fp8 v[8:11], a[130:131], a[18:19], v[8:11]// 000000003A30: D3F30008 1C222582
	buffer_load_dword v64, s[20:23], 0 offen lds               // 000000003A38: E0511000 80050040
	s_add_u32 m0, 0x300, s50                                   // 000000003A40: 807C32FF 00000300
	v_mfma_f32_16x16x32_fp8_fp8 v[8:11], a[132:133], a[20:21], v[8:11]// 000000003A48: D3F30008 1C222984
	v_mfma_f32_16x16x32_fp8_fp8 v[8:11], a[134:135], a[22:23], v[8:11]// 000000003A50: D3F30008 1C222D86
	buffer_load_dword v65, s[20:23], 0 offen lds               // 000000003A58: E0511000 80050041
	s_add_u32 m0, 0x400, s50                                   // 000000003A60: 807C32FF 00000400
	v_fma_f32 v116, v12, v6, v116                              // 000000003A68: D1CB0074 05D20D0C
	v_fma_f32 v117, v13, v6, v117                              // 000000003A70: D1CB0075 05D60D0D
	v_fma_f32 v118, v14, v6, v118                              // 000000003A78: D1CB0076 05DA0D0E
	v_fma_f32 v119, v15, v6, v119                              // 000000003A80: D1CB0077 05DE0D0F
	v_mfma_f32_16x16x32_fp8_fp8 v[12:15], a[136:137], a[16:17], 0// 000000003A88: D3F3000C 1A022188
	v_mfma_f32_16x16x32_fp8_fp8 v[12:15], a[138:139], a[18:19], v[12:15]// 000000003A90: D3F3000C 1C32258A
	buffer_load_dword v66, s[20:23], 0 offen lds               // 000000003A98: E0511000 80050042
	s_add_u32 m0, 0x500, s50                                   // 000000003AA0: 807C32FF 00000500
	v_mfma_f32_16x16x32_fp8_fp8 v[12:15], a[140:141], a[20:21], v[12:15]// 000000003AA8: D3F3000C 1C32298C
	v_mfma_f32_16x16x32_fp8_fp8 v[12:15], a[142:143], a[22:23], v[12:15]// 000000003AB0: D3F3000C 1C322D8E
	buffer_load_dword v67, s[20:23], 0 offen lds               // 000000003AB8: E0511000 80050043
	s_add_u32 m0, 0x600, s50                                   // 000000003AC0: 807C32FF 00000600
	v_fma_f32 v88, v8, v4, v88                                 // 000000003AC8: D1CB0058 05620908
	v_fma_f32 v89, v9, v4, v89                                 // 000000003AD0: D1CB0059 05660909
	v_fma_f32 v90, v10, v4, v90                                // 000000003AD8: D1CB005A 056A090A
	v_fma_f32 v91, v11, v4, v91                                // 000000003AE0: D1CB005B 056E090B
	v_mul_f32_dpp v6, v24, v41 row_newbcast:0 row_mask:0xf bank_mask:0xf// 000000003AE8: 0A0C52FA FF015018
	v_mfma_f32_16x16x32_fp8_fp8 v[8:11], a[128:129], a[24:25], 0// 000000003AF0: D3F30008 1A023180
	v_mfma_f32_16x16x32_fp8_fp8 v[8:11], a[130:131], a[26:27], v[8:11]// 000000003AF8: D3F30008 1C223582
	buffer_load_dword v68, s[20:23], 0 offen lds               // 000000003B00: E0511000 80050044
	s_add_u32 m0, 0x700, s50                                   // 000000003B08: 807C32FF 00000700
	v_mfma_f32_16x16x32_fp8_fp8 v[8:11], a[132:133], a[28:29], v[8:11]// 000000003B10: D3F30008 1C223984
	v_mfma_f32_16x16x32_fp8_fp8 v[8:11], a[134:135], a[30:31], v[8:11]// 000000003B18: D3F30008 1C223D86
	buffer_load_dword v69, s[20:23], 0 offen lds               // 000000003B20: E0511000 80050045
	s_add_u32 m0, 0x800, s50                                   // 000000003B28: 807C32FF 00000800
	v_fma_f32 v120, v12, v4, v120                              // 000000003B30: D1CB0078 05E2090C
	v_fma_f32 v121, v13, v4, v121                              // 000000003B38: D1CB0079 05E6090D
	v_fma_f32 v122, v14, v4, v122                              // 000000003B40: D1CB007A 05EA090E
	v_fma_f32 v123, v15, v4, v123                              // 000000003B48: D1CB007B 05EE090F
	v_mfma_f32_16x16x32_fp8_fp8 v[12:15], a[136:137], a[24:25], 0// 000000003B50: D3F3000C 1A023188
	v_mfma_f32_16x16x32_fp8_fp8 v[12:15], a[138:139], a[26:27], v[12:15]// 000000003B58: D3F3000C 1C32358A
	buffer_load_dword v70, s[20:23], 0 offen lds               // 000000003B60: E0511000 80050046
	s_add_u32 m0, 0x900, s50                                   // 000000003B68: 807C32FF 00000900
	v_mfma_f32_16x16x32_fp8_fp8 v[12:15], a[140:141], a[28:29], v[12:15]// 000000003B70: D3F3000C 1C32398C
	v_mfma_f32_16x16x32_fp8_fp8 v[12:15], a[142:143], a[30:31], v[12:15]// 000000003B78: D3F3000C 1C323D8E
	buffer_load_dword v71, s[20:23], 0 offen lds               // 000000003B80: E0511000 80050047
	s_add_u32 m0, 0xa00, s50                                   // 000000003B88: 807C32FF 00000A00
	v_fma_f32 v92, v8, v6, v92                                 // 000000003B90: D1CB005C 05720D08
	v_fma_f32 v93, v9, v6, v93                                 // 000000003B98: D1CB005D 05760D09
	v_fma_f32 v94, v10, v6, v94                                // 000000003BA0: D1CB005E 057A0D0A
	v_fma_f32 v95, v11, v6, v95                                // 000000003BA8: D1CB005F 057E0D0B
	v_mul_f32_dpp v4, v24, v42 row_newbcast:0 row_mask:0xf bank_mask:0xf// 000000003BB0: 0A0854FA FF015018
	v_mfma_f32_16x16x32_fp8_fp8 v[8:11], a[128:129], a[32:33], 0// 000000003BB8: D3F30008 1A024180
	v_mfma_f32_16x16x32_fp8_fp8 v[8:11], a[130:131], a[34:35], v[8:11]// 000000003BC0: D3F30008 1C224582
	buffer_load_dword v72, s[20:23], 0 offen lds               // 000000003BC8: E0511000 80050048
	s_add_u32 m0, 0xb00, s50                                   // 000000003BD0: 807C32FF 00000B00
	v_mfma_f32_16x16x32_fp8_fp8 v[8:11], a[132:133], a[36:37], v[8:11]// 000000003BD8: D3F30008 1C224984
	v_mfma_f32_16x16x32_fp8_fp8 v[8:11], a[134:135], a[38:39], v[8:11]// 000000003BE0: D3F30008 1C224D86
	buffer_load_dword v73, s[20:23], 0 offen lds               // 000000003BE8: E0511000 80050049
	s_add_u32 m0, 0xc00, s50                                   // 000000003BF0: 807C32FF 00000C00
	v_fma_f32 v124, v12, v6, v124                              // 000000003BF8: D1CB007C 05F20D0C
	v_fma_f32 v125, v13, v6, v125                              // 000000003C00: D1CB007D 05F60D0D
	v_fma_f32 v126, v14, v6, v126                              // 000000003C08: D1CB007E 05FA0D0E
	v_fma_f32 v127, v15, v6, v127                              // 000000003C10: D1CB007F 05FE0D0F
	v_mfma_f32_16x16x32_fp8_fp8 v[12:15], a[136:137], a[32:33], 0// 000000003C18: D3F3000C 1A024188
	v_mfma_f32_16x16x32_fp8_fp8 v[12:15], a[138:139], a[34:35], v[12:15]// 000000003C20: D3F3000C 1C32458A
	buffer_load_dword v74, s[20:23], 0 offen lds               // 000000003C28: E0511000 8005004A
	s_add_u32 m0, 0xd00, s50                                   // 000000003C30: 807C32FF 00000D00
	v_mfma_f32_16x16x32_fp8_fp8 v[12:15], a[140:141], a[36:37], v[12:15]// 000000003C38: D3F3000C 1C32498C
	v_mfma_f32_16x16x32_fp8_fp8 v[12:15], a[142:143], a[38:39], v[12:15]// 000000003C40: D3F3000C 1C324D8E
	buffer_load_dword v75, s[20:23], 0 offen lds               // 000000003C48: E0511000 8005004B
	s_add_u32 m0, 0xe00, s50                                   // 000000003C50: 807C32FF 00000E00
	v_fma_f32 v96, v8, v4, v96                                 // 000000003C58: D1CB0060 05820908
	v_fma_f32 v97, v9, v4, v97                                 // 000000003C60: D1CB0061 05860909
	v_fma_f32 v98, v10, v4, v98                                // 000000003C68: D1CB0062 058A090A
	v_fma_f32 v99, v11, v4, v99                                // 000000003C70: D1CB0063 058E090B
	v_mul_f32_dpp v6, v24, v43 row_newbcast:0 row_mask:0xf bank_mask:0xf// 000000003C78: 0A0C56FA FF015018
	v_mfma_f32_16x16x32_fp8_fp8 v[8:11], a[128:129], a[40:41], 0// 000000003C80: D3F30008 1A025180
	v_mfma_f32_16x16x32_fp8_fp8 v[8:11], a[130:131], a[42:43], v[8:11]// 000000003C88: D3F30008 1C225582
	buffer_load_dword v76, s[20:23], 0 offen lds               // 000000003C90: E0511000 8005004C
	s_add_u32 m0, 0xf00, s50                                   // 000000003C98: 807C32FF 00000F00
	v_mfma_f32_16x16x32_fp8_fp8 v[8:11], a[132:133], a[44:45], v[8:11]// 000000003CA0: D3F30008 1C225984
	v_mfma_f32_16x16x32_fp8_fp8 v[8:11], a[134:135], a[46:47], v[8:11]// 000000003CA8: D3F30008 1C225D86
	buffer_load_dword v77, s[20:23], 0 offen lds               // 000000003CB0: E0511000 8005004D
	s_add_u32 m0, 0, s48                                       // 000000003CB8: 807C3080
	v_fma_f32 v128, v12, v4, v128                              // 000000003CBC: D1CB0080 0602090C
	v_fma_f32 v129, v13, v4, v129                              // 000000003CC4: D1CB0081 0606090D
	v_fma_f32 v130, v14, v4, v130                              // 000000003CCC: D1CB0082 060A090E
	v_fma_f32 v131, v15, v4, v131                              // 000000003CD4: D1CB0083 060E090F
	v_mfma_f32_16x16x32_fp8_fp8 v[12:15], a[136:137], a[40:41], 0// 000000003CDC: D3F3000C 1A025188
	v_mfma_f32_16x16x32_fp8_fp8 v[12:15], a[138:139], a[42:43], v[12:15]// 000000003CE4: D3F3000C 1C32558A
	buffer_load_dword v54, v30, s[28:31], 0 offen              // 000000003CEC: E0501000 8007361E
	v_mfma_f32_16x16x32_fp8_fp8 v[12:15], a[140:141], a[44:45], v[12:15]// 000000003CF4: D3F3000C 1C32598C
	v_mfma_f32_16x16x32_fp8_fp8 v[12:15], a[142:143], a[46:47], v[12:15]// 000000003CFC: D3F3000C 1C325D8E
	buffer_load_dword v55, v31, s[28:31], 0 offen              // 000000003D04: E0501000 8007371F
	v_fma_f32 v100, v8, v6, v100                               // 000000003D0C: D1CB0064 05920D08
	v_fma_f32 v101, v9, v6, v101                               // 000000003D14: D1CB0065 05960D09
	v_fma_f32 v102, v10, v6, v102                              // 000000003D1C: D1CB0066 059A0D0A
	v_fma_f32 v103, v11, v6, v103                              // 000000003D24: D1CB0067 059E0D0B
	v_mul_f32_dpp v4, v24, v44 row_newbcast:0 row_mask:0xf bank_mask:0xf// 000000003D2C: 0A0858FA FF015018
	v_mfma_f32_16x16x32_fp8_fp8 v[8:11], a[128:129], a[48:49], 0// 000000003D34: D3F30008 1A026180
	v_mfma_f32_16x16x32_fp8_fp8 v[8:11], a[130:131], a[50:51], v[8:11]// 000000003D3C: D3F30008 1C226582
	buffer_load_dword v56, v32, s[28:31], 0 offen              // 000000003D44: E0501000 80073820
	v_mfma_f32_16x16x32_fp8_fp8 v[8:11], a[132:133], a[52:53], v[8:11]// 000000003D4C: D3F30008 1C226984
	v_mfma_f32_16x16x32_fp8_fp8 v[8:11], a[134:135], a[54:55], v[8:11]// 000000003D54: D3F30008 1C226D86
	buffer_load_dword v57, v33, s[28:31], 0 offen              // 000000003D5C: E0501000 80073921
	v_fma_f32 v132, v12, v6, v132                              // 000000003D64: D1CB0084 06120D0C
	v_fma_f32 v133, v13, v6, v133                              // 000000003D6C: D1CB0085 06160D0D
	v_fma_f32 v134, v14, v6, v134                              // 000000003D74: D1CB0086 061A0D0E
	v_fma_f32 v135, v15, v6, v135                              // 000000003D7C: D1CB0087 061E0D0F
	v_mfma_f32_16x16x32_fp8_fp8 v[12:15], a[136:137], a[48:49], 0// 000000003D84: D3F3000C 1A026188
	v_mfma_f32_16x16x32_fp8_fp8 v[12:15], a[138:139], a[50:51], v[12:15]// 000000003D8C: D3F3000C 1C32658A
	buffer_load_dword v58, v34, s[28:31], 0 offen              // 000000003D94: E0501000 80073A22
	v_mfma_f32_16x16x32_fp8_fp8 v[12:15], a[140:141], a[52:53], v[12:15]// 000000003D9C: D3F3000C 1C32698C
	v_mfma_f32_16x16x32_fp8_fp8 v[12:15], a[142:143], a[54:55], v[12:15]// 000000003DA4: D3F3000C 1C326D8E
	buffer_load_dword v59, v35, s[28:31], 0 offen              // 000000003DAC: E0501000 80073B23
	v_fma_f32 v104, v8, v4, v104                               // 000000003DB4: D1CB0068 05A20908
	v_fma_f32 v105, v9, v4, v105                               // 000000003DBC: D1CB0069 05A60909
	v_fma_f32 v106, v10, v4, v106                              // 000000003DC4: D1CB006A 05AA090A
	v_fma_f32 v107, v11, v4, v107                              // 000000003DCC: D1CB006B 05AE090B
	v_mul_f32_dpp v6, v24, v45 row_newbcast:0 row_mask:0xf bank_mask:0xf// 000000003DD4: 0A0C5AFA FF015018
	v_mfma_f32_16x16x32_fp8_fp8 v[8:11], a[128:129], a[56:57], 0// 000000003DDC: D3F30008 1A027180
	v_mfma_f32_16x16x32_fp8_fp8 v[8:11], a[130:131], a[58:59], v[8:11]// 000000003DE4: D3F30008 1C227582
	buffer_load_dword v60, v36, s[28:31], 0 offen              // 000000003DEC: E0501000 80073C24
	v_mfma_f32_16x16x32_fp8_fp8 v[8:11], a[132:133], a[60:61], v[8:11]// 000000003DF4: D3F30008 1C227984
	v_mfma_f32_16x16x32_fp8_fp8 v[8:11], a[134:135], a[62:63], v[8:11]// 000000003DFC: D3F30008 1C227D86
	buffer_load_dword v61, v37, s[28:31], 0 offen              // 000000003E04: E0501000 80073D25
	v_fma_f32 v136, v12, v4, v136                              // 000000003E0C: D1CB0088 0622090C
	v_fma_f32 v137, v13, v4, v137                              // 000000003E14: D1CB0089 0626090D
	v_fma_f32 v138, v14, v4, v138                              // 000000003E1C: D1CB008A 062A090E
	v_fma_f32 v139, v15, v4, v139                              // 000000003E24: D1CB008B 062E090F
	v_mfma_f32_16x16x32_fp8_fp8 v[12:15], a[136:137], a[56:57], 0// 000000003E2C: D3F3000C 1A027188
	v_mfma_f32_16x16x32_fp8_fp8 v[12:15], a[138:139], a[58:59], v[12:15]// 000000003E34: D3F3000C 1C32758A
	v_mfma_f32_16x16x32_fp8_fp8 v[12:15], a[140:141], a[60:61], v[12:15]// 000000003E3C: D3F3000C 1C32798C
	v_mfma_f32_16x16x32_fp8_fp8 v[12:15], a[142:143], a[62:63], v[12:15]// 000000003E44: D3F3000C 1C327D8E
	v_fma_f32 v108, v8, v6, v108                               // 000000003E4C: D1CB006C 05B20D08
	v_fma_f32 v109, v9, v6, v109                               // 000000003E54: D1CB006D 05B60D09
	v_fma_f32 v110, v10, v6, v110                              // 000000003E5C: D1CB006E 05BA0D0A
	v_fma_f32 v111, v11, v6, v111                              // 000000003E64: D1CB006F 05BE0D0B
	v_fma_f32 v140, v12, v6, v140                              // 000000003E6C: D1CB008C 06320D0C
	v_fma_f32 v141, v13, v6, v141                              // 000000003E74: D1CB008D 06360D0D
	v_fma_f32 v142, v14, v6, v142                              // 000000003E7C: D1CB008E 063A0D0E
	v_fma_f32 v143, v15, v6, v143                              // 000000003E84: D1CB008F 063E0D0F
	s_waitcnt vmcnt(29)                                        // 000000003E8C: BF8C4F7D
	s_barrier                                                  // 000000003E90: BF8A0000
	v_mul_f32_dpp v4, v27, v38 row_newbcast:0 row_mask:0xf bank_mask:0xf// 000000003E94: 0A084CFA FF01501B
	v_mfma_f32_16x16x32_fp8_fp8 v[8:11], a[144:145], a[0:1], 0 // 000000003E9C: D3F30008 1A020190
	buffer_load_dword v28, v23, s[32:35], 0 offen              // 000000003EA4: E0501000 80081C17
	v_mfma_f32_16x16x32_fp8_fp8 v[8:11], a[146:147], a[2:3], v[8:11]// 000000003EAC: D3F30008 1C220592
	buffer_load_dwordx4 a[128:131], v78, s[84:87], 0 offen     // 000000003EB4: E05C1000 8095804E
	v_mfma_f32_16x16x32_fp8_fp8 v[8:11], a[148:149], a[4:5], v[8:11]// 000000003EBC: D3F30008 1C220994
	v_mfma_f32_16x16x32_fp8_fp8 v[8:11], a[150:151], a[6:7], v[8:11]// 000000003EC4: D3F30008 1C220D96
	ds_read_b128 a[64:67], v2 offset:16512                     // 000000003ECC: DBFE4080 40000002
	ds_read_b128 a[68:71], v2 offset:16576                     // 000000003ED4: DBFE40C0 44000002
	v_mfma_f32_16x16x32_fp8_fp8 v[12:15], a[152:153], a[0:1], 0// 000000003EDC: D3F3000C 1A020198
	v_mfma_f32_16x16x32_fp8_fp8 v[12:15], a[154:155], a[2:3], v[12:15]// 000000003EE4: D3F3000C 1C32059A
	buffer_load_dwordx4 a[132:135], v78, s[84:87], 0 offen offset:1024// 000000003EEC: E05C1400 8095844E
	v_mfma_f32_16x16x32_fp8_fp8 v[12:15], a[156:157], a[4:5], v[12:15]// 000000003EF4: D3F3000C 1C32099C
	v_mfma_f32_16x16x32_fp8_fp8 v[12:15], a[158:159], a[6:7], v[12:15]// 000000003EFC: D3F3000C 1C320D9E
	ds_read_b128 a[72:75], v2 offset:17024                     // 000000003F04: DBFE4280 48000002
	ds_read_b128 a[76:79], v2 offset:17088                     // 000000003F0C: DBFE42C0 4C000002
	v_fma_f32 v144, v8, v4, v144                               // 000000003F14: D1CB0090 06420908
	v_fma_f32 v145, v9, v4, v145                               // 000000003F1C: D1CB0091 06460909
	v_fma_f32 v146, v10, v4, v146                              // 000000003F24: D1CB0092 064A090A
	v_fma_f32 v147, v11, v4, v147                              // 000000003F2C: D1CB0093 064E090B
	v_mul_f32_dpp v6, v27, v39 row_newbcast:0 row_mask:0xf bank_mask:0xf// 000000003F34: 0A0C4EFA FF01501B
	v_mfma_f32_16x16x32_fp8_fp8 v[8:11], a[144:145], a[8:9], 0 // 000000003F3C: D3F30008 1A021190
	v_mfma_f32_16x16x32_fp8_fp8 v[8:11], a[146:147], a[10:11], v[8:11]// 000000003F44: D3F30008 1C221592
	buffer_load_dwordx4 a[136:139], v79, s[84:87], 0 offen     // 000000003F4C: E05C1000 8095884F
	v_mfma_f32_16x16x32_fp8_fp8 v[8:11], a[148:149], a[12:13], v[8:11]// 000000003F54: D3F30008 1C221994
	v_mfma_f32_16x16x32_fp8_fp8 v[8:11], a[150:151], a[14:15], v[8:11]// 000000003F5C: D3F30008 1C221D96
	ds_read_b128 a[80:83], v2 offset:17536                     // 000000003F64: DBFE4480 50000002
	ds_read_b128 a[84:87], v2 offset:17600                     // 000000003F6C: DBFE44C0 54000002
	v_fma_f32 v176, v12, v4, v176                              // 000000003F74: D1CB00B0 06C2090C
	v_fma_f32 v177, v13, v4, v177                              // 000000003F7C: D1CB00B1 06C6090D
	v_fma_f32 v178, v14, v4, v178                              // 000000003F84: D1CB00B2 06CA090E
	v_fma_f32 v179, v15, v4, v179                              // 000000003F8C: D1CB00B3 06CE090F
	v_mfma_f32_16x16x32_fp8_fp8 v[12:15], a[152:153], a[8:9], 0// 000000003F94: D3F3000C 1A021198
	v_mfma_f32_16x16x32_fp8_fp8 v[12:15], a[154:155], a[10:11], v[12:15]// 000000003F9C: D3F3000C 1C32159A
	buffer_load_dwordx4 a[140:143], v79, s[84:87], 0 offen offset:1024// 000000003FA4: E05C1400 80958C4F
	v_mfma_f32_16x16x32_fp8_fp8 v[12:15], a[156:157], a[12:13], v[12:15]// 000000003FAC: D3F3000C 1C32199C
	v_mfma_f32_16x16x32_fp8_fp8 v[12:15], a[158:159], a[14:15], v[12:15]// 000000003FB4: D3F3000C 1C321D9E
	ds_read_b128 a[88:91], v2 offset:18048                     // 000000003FBC: DBFE4680 58000002
	ds_read_b128 a[92:95], v2 offset:18112                     // 000000003FC4: DBFE46C0 5C000002
	v_fma_f32 v148, v8, v6, v148                               // 000000003FCC: D1CB0094 06520D08
	v_fma_f32 v149, v9, v6, v149                               // 000000003FD4: D1CB0095 06560D09
	v_fma_f32 v150, v10, v6, v150                              // 000000003FDC: D1CB0096 065A0D0A
	v_fma_f32 v151, v11, v6, v151                              // 000000003FE4: D1CB0097 065E0D0B
	v_mul_f32_dpp v4, v27, v40 row_newbcast:0 row_mask:0xf bank_mask:0xf// 000000003FEC: 0A0850FA FF01501B
	v_mfma_f32_16x16x32_fp8_fp8 v[8:11], a[144:145], a[16:17], 0// 000000003FF4: D3F30008 1A022190
	v_mfma_f32_16x16x32_fp8_fp8 v[8:11], a[146:147], a[18:19], v[8:11]// 000000003FFC: D3F30008 1C222592
	v_mfma_f32_16x16x32_fp8_fp8 v[8:11], a[148:149], a[20:21], v[8:11]// 000000004004: D3F30008 1C222994
	v_mfma_f32_16x16x32_fp8_fp8 v[8:11], a[150:151], a[22:23], v[8:11]// 00000000400C: D3F30008 1C222D96
	ds_read_b128 a[96:99], v2 offset:18560                     // 000000004014: DBFE4880 60000002
	ds_read_b128 a[100:103], v2 offset:18624                   // 00000000401C: DBFE48C0 64000002
	v_fma_f32 v180, v12, v6, v180                              // 000000004024: D1CB00B4 06D20D0C
	v_fma_f32 v181, v13, v6, v181                              // 00000000402C: D1CB00B5 06D60D0D
	v_fma_f32 v182, v14, v6, v182                              // 000000004034: D1CB00B6 06DA0D0E
	v_fma_f32 v183, v15, v6, v183                              // 00000000403C: D1CB00B7 06DE0D0F
	v_mfma_f32_16x16x32_fp8_fp8 v[12:15], a[152:153], a[16:17], 0// 000000004044: D3F3000C 1A022198
	v_mfma_f32_16x16x32_fp8_fp8 v[12:15], a[154:155], a[18:19], v[12:15]// 00000000404C: D3F3000C 1C32259A
	v_mfma_f32_16x16x32_fp8_fp8 v[12:15], a[156:157], a[20:21], v[12:15]// 000000004054: D3F3000C 1C32299C
	v_mfma_f32_16x16x32_fp8_fp8 v[12:15], a[158:159], a[22:23], v[12:15]// 00000000405C: D3F3000C 1C322D9E
	ds_read_b128 a[104:107], v2 offset:19072                   // 000000004064: DBFE4A80 68000002
	ds_read_b128 a[108:111], v2 offset:19136                   // 00000000406C: DBFE4AC0 6C000002
	v_fma_f32 v152, v8, v4, v152                               // 000000004074: D1CB0098 06620908
	v_fma_f32 v153, v9, v4, v153                               // 00000000407C: D1CB0099 06660909
	v_fma_f32 v154, v10, v4, v154                              // 000000004084: D1CB009A 066A090A
	v_fma_f32 v155, v11, v4, v155                              // 00000000408C: D1CB009B 066E090B
	v_mul_f32_dpp v6, v27, v41 row_newbcast:0 row_mask:0xf bank_mask:0xf// 000000004094: 0A0C52FA FF01501B
	v_mfma_f32_16x16x32_fp8_fp8 v[8:11], a[144:145], a[24:25], 0// 00000000409C: D3F30008 1A023190
	v_mfma_f32_16x16x32_fp8_fp8 v[8:11], a[146:147], a[26:27], v[8:11]// 0000000040A4: D3F30008 1C223592
	v_mfma_f32_16x16x32_fp8_fp8 v[8:11], a[148:149], a[28:29], v[8:11]// 0000000040AC: D3F30008 1C223994
	v_mfma_f32_16x16x32_fp8_fp8 v[8:11], a[150:151], a[30:31], v[8:11]// 0000000040B4: D3F30008 1C223D96
	ds_read_b128 a[112:115], v2 offset:19584                   // 0000000040BC: DBFE4C80 70000002
	ds_read_b128 a[116:119], v2 offset:19648                   // 0000000040C4: DBFE4CC0 74000002
	v_fma_f32 v184, v12, v4, v184                              // 0000000040CC: D1CB00B8 06E2090C
	v_fma_f32 v185, v13, v4, v185                              // 0000000040D4: D1CB00B9 06E6090D
	v_fma_f32 v186, v14, v4, v186                              // 0000000040DC: D1CB00BA 06EA090E
	v_fma_f32 v187, v15, v4, v187                              // 0000000040E4: D1CB00BB 06EE090F
	v_mfma_f32_16x16x32_fp8_fp8 v[12:15], a[152:153], a[24:25], 0// 0000000040EC: D3F3000C 1A023198
	v_mfma_f32_16x16x32_fp8_fp8 v[12:15], a[154:155], a[26:27], v[12:15]// 0000000040F4: D3F3000C 1C32359A
	v_mfma_f32_16x16x32_fp8_fp8 v[12:15], a[156:157], a[28:29], v[12:15]// 0000000040FC: D3F3000C 1C32399C
	v_mfma_f32_16x16x32_fp8_fp8 v[12:15], a[158:159], a[30:31], v[12:15]// 000000004104: D3F3000C 1C323D9E
	ds_read_b128 a[120:123], v2 offset:20096                   // 00000000410C: DBFE4E80 78000002
	ds_read_b128 a[124:127], v2 offset:20160                   // 000000004114: DBFE4EC0 7C000002
	v_fma_f32 v156, v8, v6, v156                               // 00000000411C: D1CB009C 06720D08
	v_fma_f32 v157, v9, v6, v157                               // 000000004124: D1CB009D 06760D09
	v_fma_f32 v158, v10, v6, v158                              // 00000000412C: D1CB009E 067A0D0A
	v_fma_f32 v159, v11, v6, v159                              // 000000004134: D1CB009F 067E0D0B
	v_mul_f32_dpp v4, v27, v42 row_newbcast:0 row_mask:0xf bank_mask:0xf// 00000000413C: 0A0854FA FF01501B
	v_mfma_f32_16x16x32_fp8_fp8 v[8:11], a[144:145], a[32:33], 0// 000000004144: D3F30008 1A024190
	v_mfma_f32_16x16x32_fp8_fp8 v[8:11], a[146:147], a[34:35], v[8:11]// 00000000414C: D3F30008 1C224592
	v_mfma_f32_16x16x32_fp8_fp8 v[8:11], a[148:149], a[36:37], v[8:11]// 000000004154: D3F30008 1C224994
	v_mfma_f32_16x16x32_fp8_fp8 v[8:11], a[150:151], a[38:39], v[8:11]// 00000000415C: D3F30008 1C224D96
	v_fma_f32 v188, v12, v6, v188                              // 000000004164: D1CB00BC 06F20D0C
	v_fma_f32 v189, v13, v6, v189                              // 00000000416C: D1CB00BD 06F60D0D
	v_fma_f32 v190, v14, v6, v190                              // 000000004174: D1CB00BE 06FA0D0E
	v_fma_f32 v191, v15, v6, v191                              // 00000000417C: D1CB00BF 06FE0D0F
	v_mfma_f32_16x16x32_fp8_fp8 v[12:15], a[152:153], a[32:33], 0// 000000004184: D3F3000C 1A024198
	v_mfma_f32_16x16x32_fp8_fp8 v[12:15], a[154:155], a[34:35], v[12:15]// 00000000418C: D3F3000C 1C32459A
	v_mfma_f32_16x16x32_fp8_fp8 v[12:15], a[156:157], a[36:37], v[12:15]// 000000004194: D3F3000C 1C32499C
	v_mfma_f32_16x16x32_fp8_fp8 v[12:15], a[158:159], a[38:39], v[12:15]// 00000000419C: D3F3000C 1C324D9E
	v_fma_f32 v160, v8, v4, v160                               // 0000000041A4: D1CB00A0 06820908
	v_fma_f32 v161, v9, v4, v161                               // 0000000041AC: D1CB00A1 06860909
	v_fma_f32 v162, v10, v4, v162                              // 0000000041B4: D1CB00A2 068A090A
	v_fma_f32 v163, v11, v4, v163                              // 0000000041BC: D1CB00A3 068E090B
	v_mul_f32_dpp v6, v27, v43 row_newbcast:0 row_mask:0xf bank_mask:0xf// 0000000041C4: 0A0C56FA FF01501B
	v_mfma_f32_16x16x32_fp8_fp8 v[8:11], a[144:145], a[40:41], 0// 0000000041CC: D3F30008 1A025190
	v_mfma_f32_16x16x32_fp8_fp8 v[8:11], a[146:147], a[42:43], v[8:11]// 0000000041D4: D3F30008 1C225592
	v_mfma_f32_16x16x32_fp8_fp8 v[8:11], a[148:149], a[44:45], v[8:11]// 0000000041DC: D3F30008 1C225994
	v_mfma_f32_16x16x32_fp8_fp8 v[8:11], a[150:151], a[46:47], v[8:11]// 0000000041E4: D3F30008 1C225D96
	v_fma_f32 v192, v12, v4, v192                              // 0000000041EC: D1CB00C0 0702090C
	v_fma_f32 v193, v13, v4, v193                              // 0000000041F4: D1CB00C1 0706090D
	v_fma_f32 v194, v14, v4, v194                              // 0000000041FC: D1CB00C2 070A090E
	v_fma_f32 v195, v15, v4, v195                              // 000000004204: D1CB00C3 070E090F
	v_mfma_f32_16x16x32_fp8_fp8 v[12:15], a[152:153], a[40:41], 0// 00000000420C: D3F3000C 1A025198
	v_mfma_f32_16x16x32_fp8_fp8 v[12:15], a[154:155], a[42:43], v[12:15]// 000000004214: D3F3000C 1C32559A
	v_mfma_f32_16x16x32_fp8_fp8 v[12:15], a[156:157], a[44:45], v[12:15]// 00000000421C: D3F3000C 1C32599C
	v_mfma_f32_16x16x32_fp8_fp8 v[12:15], a[158:159], a[46:47], v[12:15]// 000000004224: D3F3000C 1C325D9E
	v_fma_f32 v164, v8, v6, v164                               // 00000000422C: D1CB00A4 06920D08
	v_fma_f32 v165, v9, v6, v165                               // 000000004234: D1CB00A5 06960D09
	v_fma_f32 v166, v10, v6, v166                              // 00000000423C: D1CB00A6 069A0D0A
	v_fma_f32 v167, v11, v6, v167                              // 000000004244: D1CB00A7 069E0D0B
	v_mul_f32_dpp v4, v27, v44 row_newbcast:0 row_mask:0xf bank_mask:0xf// 00000000424C: 0A0858FA FF01501B
	v_mfma_f32_16x16x32_fp8_fp8 v[8:11], a[144:145], a[48:49], 0// 000000004254: D3F30008 1A026190
	v_mfma_f32_16x16x32_fp8_fp8 v[8:11], a[146:147], a[50:51], v[8:11]// 00000000425C: D3F30008 1C226592
	v_mfma_f32_16x16x32_fp8_fp8 v[8:11], a[148:149], a[52:53], v[8:11]// 000000004264: D3F30008 1C226994
	v_mfma_f32_16x16x32_fp8_fp8 v[8:11], a[150:151], a[54:55], v[8:11]// 00000000426C: D3F30008 1C226D96
	v_fma_f32 v196, v12, v6, v196                              // 000000004274: D1CB00C4 07120D0C
	v_fma_f32 v197, v13, v6, v197                              // 00000000427C: D1CB00C5 07160D0D
	v_fma_f32 v198, v14, v6, v198                              // 000000004284: D1CB00C6 071A0D0E
	v_fma_f32 v199, v15, v6, v199                              // 00000000428C: D1CB00C7 071E0D0F
	v_mfma_f32_16x16x32_fp8_fp8 v[12:15], a[152:153], a[48:49], 0// 000000004294: D3F3000C 1A026198
	v_mfma_f32_16x16x32_fp8_fp8 v[12:15], a[154:155], a[50:51], v[12:15]// 00000000429C: D3F3000C 1C32659A
	v_mfma_f32_16x16x32_fp8_fp8 v[12:15], a[156:157], a[52:53], v[12:15]// 0000000042A4: D3F3000C 1C32699C
	v_mfma_f32_16x16x32_fp8_fp8 v[12:15], a[158:159], a[54:55], v[12:15]// 0000000042AC: D3F3000C 1C326D9E
	v_fma_f32 v168, v8, v4, v168                               // 0000000042B4: D1CB00A8 06A20908
	v_fma_f32 v169, v9, v4, v169                               // 0000000042BC: D1CB00A9 06A60909
	v_fma_f32 v170, v10, v4, v170                              // 0000000042C4: D1CB00AA 06AA090A
	v_fma_f32 v171, v11, v4, v171                              // 0000000042CC: D1CB00AB 06AE090B
	v_mul_f32_dpp v6, v27, v45 row_newbcast:0 row_mask:0xf bank_mask:0xf// 0000000042D4: 0A0C5AFA FF01501B
	v_mfma_f32_16x16x32_fp8_fp8 v[8:11], a[144:145], a[56:57], 0// 0000000042DC: D3F30008 1A027190
	s_add_u32 s60, 0x180, s80                                  // 0000000042E4: 803C50FF 00000180
	s_cmp_lt_u32 s60, s81                                      // 0000000042EC: BF0A513C
	s_cselect_b32 s57, s57, 0                                  // 0000000042F0: 85398039
	s_cselect_b32 s3, s3, 0                                    // 0000000042F4: 85038003
	v_mfma_f32_16x16x32_fp8_fp8 v[8:11], a[146:147], a[58:59], v[8:11]// 0000000042F8: D3F30008 1C227592
	s_add_u32 s60, 0x100, s80                                  // 000000004300: 803C50FF 00000100
	s_cmp_lt_u32 s60, s81                                      // 000000004308: BF0A513C
	s_cselect_b32 s58, s58, 0                                  // 00000000430C: 853A803A
	v_mfma_f32_16x16x32_fp8_fp8 v[8:11], a[148:149], a[60:61], v[8:11]// 000000004310: D3F30008 1C227994
	s_add_u32 s60, 0x100, s80                                  // 000000004318: 803C50FF 00000100
	s_cmp_lt_u32 s60, s81                                      // 000000004320: BF0A513C
	s_cselect_b32 s83, s83, 0                                  // 000000004324: 85538053
	s_cselect_b32 s4, s4, 0                                    // 000000004328: 85048004
	v_mfma_f32_16x16x32_fp8_fp8 v[8:11], a[150:151], a[62:63], v[8:11]// 00000000432C: D3F30008 1C227D96
	s_add_u32 s24, s58, s24                                    // 000000004334: 8018183A
	s_addc_u32 s25, 0, s25                                     // 000000004338: 82191980
	v_fma_f32 v200, v12, v4, v200                              // 00000000433C: D1CB00C8 0722090C
	v_fma_f32 v201, v13, v4, v201                              // 000000004344: D1CB00C9 0726090D
	v_fma_f32 v202, v14, v4, v202                              // 00000000434C: D1CB00CA 072A090E
	v_fma_f32 v203, v15, v4, v203                              // 000000004354: D1CB00CB 072E090F
	v_mfma_f32_16x16x32_fp8_fp8 v[12:15], a[152:153], a[56:57], 0// 00000000435C: D3F3000C 1A027198
	s_add_u32 s20, s57, s20                                    // 000000004364: 80141439
	s_addc_u32 s21, 0, s21                                     // 000000004368: 82151580
	s_add_u32 s28, s3, s28                                     // 00000000436C: 801C1C03
	s_addc_u32 s29, 0, s29                                     // 000000004370: 821D1D80
	v_mfma_f32_16x16x32_fp8_fp8 v[12:15], a[154:155], a[58:59], v[12:15]// 000000004374: D3F3000C 1C32759A
	s_add_u32 s84, s83, s84                                    // 00000000437C: 80545453
	s_addc_u32 s85, 0, s85                                     // 000000004380: 82555580
	v_mfma_f32_16x16x32_fp8_fp8 v[12:15], a[156:157], a[60:61], v[12:15]// 000000004384: D3F3000C 1C32799C
	s_add_u32 s32, s4, s32                                     // 00000000438C: 80202004
	s_addc_u32 s33, 0, s33                                     // 000000004390: 82212180
	v_mfma_f32_16x16x32_fp8_fp8 v[12:15], a[158:159], a[62:63], v[12:15]// 000000004394: D3F3000C 1C327D9E
	v_fma_f32 v172, v8, v6, v172                               // 00000000439C: D1CB00AC 06B20D08
	v_fma_f32 v173, v9, v6, v173                               // 0000000043A4: D1CB00AD 06B60D09
	v_fma_f32 v174, v10, v6, v174                              // 0000000043AC: D1CB00AE 06BA0D0A
	v_fma_f32 v175, v11, v6, v175                              // 0000000043B4: D1CB00AF 06BE0D0B
	v_fma_f32 v204, v12, v6, v204                              // 0000000043BC: D1CB00CC 07320D0C
	v_fma_f32 v205, v13, v6, v205                              // 0000000043C4: D1CB00CD 07360D0D
	v_fma_f32 v206, v14, v6, v206                              // 0000000043CC: D1CB00CE 073A0D0E
	v_fma_f32 v207, v15, v6, v207                              // 0000000043D4: D1CB00CF 073E0D0F
	s_addk_i32 s80, 0x80                                       // 0000000043DC: B7500080
	s_cmp_lt_i32 s80, s81                                      // 0000000043E0: BF045150
	s_cbranch_scc0 label_1440                                  // 0000000043E4: BF840DC6
	s_waitcnt vmcnt(29) lgkmcnt(0)                             // 0000000043E8: BF8C407D
	v_mul_f32_dpp v4, v25, v46 row_newbcast:0 row_mask:0xf bank_mask:0xf// 0000000043EC: 0A085CFA FF015019
	v_mfma_f32_16x16x32_fp8_fp8 v[8:11], a[160:161], a[64:65], 0// 0000000043F4: D3F30008 1A0281A0
	buffer_load_dword v26, v22, s[32:35], 0 offen              // 0000000043FC: E0501000 80081A16
	v_mfma_f32_16x16x32_fp8_fp8 v[8:11], a[162:163], a[66:67], v[8:11]// 000000004404: D3F30008 1C2285A2
	buffer_load_dwordx4 a[144:147], v78, s[24:27], 0 offen     // 00000000440C: E05C1000 8086904E
	v_mfma_f32_16x16x32_fp8_fp8 v[8:11], a[164:165], a[68:69], v[8:11]// 000000004414: D3F30008 1C2289A4
	v_mfma_f32_16x16x32_fp8_fp8 v[8:11], a[166:167], a[70:71], v[8:11]// 00000000441C: D3F30008 1C228DA6
	v_mfma_f32_16x16x32_fp8_fp8 v[12:15], a[168:169], a[64:65], 0// 000000004424: D3F3000C 1A0281A8
	v_mfma_f32_16x16x32_fp8_fp8 v[12:15], a[170:171], a[66:67], v[12:15]// 00000000442C: D3F3000C 1C3285AA
	buffer_load_dwordx4 a[148:151], v78, s[24:27], 0 offen offset:1024// 000000004434: E05C1400 8086944E
	v_mfma_f32_16x16x32_fp8_fp8 v[12:15], a[172:173], a[68:69], v[12:15]// 00000000443C: D3F3000C 1C3289AC
	v_mfma_f32_16x16x32_fp8_fp8 v[12:15], a[174:175], a[70:71], v[12:15]// 000000004444: D3F3000C 1C328DAE
	v_fma_f32 v80, v8, v4, v80                                 // 00000000444C: D1CB0050 05420908
	v_fma_f32 v81, v9, v4, v81                                 // 000000004454: D1CB0051 05460909
	v_fma_f32 v82, v10, v4, v82                                // 00000000445C: D1CB0052 054A090A
	v_fma_f32 v83, v11, v4, v83                                // 000000004464: D1CB0053 054E090B
	v_mul_f32_dpp v6, v25, v47 row_newbcast:0 row_mask:0xf bank_mask:0xf// 00000000446C: 0A0C5EFA FF015019
	v_mfma_f32_16x16x32_fp8_fp8 v[8:11], a[160:161], a[72:73], 0// 000000004474: D3F30008 1A0291A0
	v_mfma_f32_16x16x32_fp8_fp8 v[8:11], a[162:163], a[74:75], v[8:11]// 00000000447C: D3F30008 1C2295A2
	buffer_load_dwordx4 a[152:155], v79, s[24:27], 0 offen     // 000000004484: E05C1000 8086984F
	v_mfma_f32_16x16x32_fp8_fp8 v[8:11], a[164:165], a[76:77], v[8:11]// 00000000448C: D3F30008 1C2299A4
	v_mfma_f32_16x16x32_fp8_fp8 v[8:11], a[166:167], a[78:79], v[8:11]// 000000004494: D3F30008 1C229DA6
	v_fma_f32 v112, v12, v4, v112                              // 00000000449C: D1CB0070 05C2090C
	v_fma_f32 v113, v13, v4, v113                              // 0000000044A4: D1CB0071 05C6090D
	v_fma_f32 v114, v14, v4, v114                              // 0000000044AC: D1CB0072 05CA090E
	v_fma_f32 v115, v15, v4, v115                              // 0000000044B4: D1CB0073 05CE090F
	v_mfma_f32_16x16x32_fp8_fp8 v[12:15], a[168:169], a[72:73], 0// 0000000044BC: D3F3000C 1A0291A8
	v_mfma_f32_16x16x32_fp8_fp8 v[12:15], a[170:171], a[74:75], v[12:15]// 0000000044C4: D3F3000C 1C3295AA
	buffer_load_dwordx4 a[156:159], v79, s[24:27], 0 offen offset:1024// 0000000044CC: E05C1400 80869C4F
	buffer_load_dword v62, s[20:23], 0 offen lds               // 0000000044D4: E0511000 8005003E
	s_add_u32 m0, 0x100, s48                                   // 0000000044DC: 807C30FF 00000100
	v_mfma_f32_16x16x32_fp8_fp8 v[12:15], a[172:173], a[76:77], v[12:15]// 0000000044E4: D3F3000C 1C3299AC
	v_mfma_f32_16x16x32_fp8_fp8 v[12:15], a[174:175], a[78:79], v[12:15]// 0000000044EC: D3F3000C 1C329DAE
	buffer_load_dword v63, s[20:23], 0 offen lds               // 0000000044F4: E0511000 8005003F
	s_add_u32 m0, 0x200, s48                                   // 0000000044FC: 807C30FF 00000200
	v_fma_f32 v84, v8, v6, v84                                 // 000000004504: D1CB0054 05520D08
	v_fma_f32 v85, v9, v6, v85                                 // 00000000450C: D1CB0055 05560D09
	v_fma_f32 v86, v10, v6, v86                                // 000000004514: D1CB0056 055A0D0A
	v_fma_f32 v87, v11, v6, v87                                // 00000000451C: D1CB0057 055E0D0B
	v_mul_f32_dpp v4, v25, v48 row_newbcast:0 row_mask:0xf bank_mask:0xf// 000000004524: 0A0860FA FF015019
	v_mfma_f32_16x16x32_fp8_fp8 v[8:11], a[160:161], a[80:81], 0// 00000000452C: D3F30008 1A02A1A0
	v_mfma_f32_16x16x32_fp8_fp8 v[8:11], a[162:163], a[82:83], v[8:11]// 000000004534: D3F30008 1C22A5A2
	buffer_load_dword v64, s[20:23], 0 offen lds               // 00000000453C: E0511000 80050040
	s_add_u32 m0, 0x300, s48                                   // 000000004544: 807C30FF 00000300
	v_mfma_f32_16x16x32_fp8_fp8 v[8:11], a[164:165], a[84:85], v[8:11]// 00000000454C: D3F30008 1C22A9A4
	v_mfma_f32_16x16x32_fp8_fp8 v[8:11], a[166:167], a[86:87], v[8:11]// 000000004554: D3F30008 1C22ADA6
	buffer_load_dword v65, s[20:23], 0 offen lds               // 00000000455C: E0511000 80050041
	s_add_u32 m0, 0x400, s48                                   // 000000004564: 807C30FF 00000400
	v_fma_f32 v116, v12, v6, v116                              // 00000000456C: D1CB0074 05D20D0C
	v_fma_f32 v117, v13, v6, v117                              // 000000004574: D1CB0075 05D60D0D
	v_fma_f32 v118, v14, v6, v118                              // 00000000457C: D1CB0076 05DA0D0E
	v_fma_f32 v119, v15, v6, v119                              // 000000004584: D1CB0077 05DE0D0F
	v_mfma_f32_16x16x32_fp8_fp8 v[12:15], a[168:169], a[80:81], 0// 00000000458C: D3F3000C 1A02A1A8
	v_mfma_f32_16x16x32_fp8_fp8 v[12:15], a[170:171], a[82:83], v[12:15]// 000000004594: D3F3000C 1C32A5AA
	buffer_load_dword v66, s[20:23], 0 offen lds               // 00000000459C: E0511000 80050042
	s_add_u32 m0, 0x500, s48                                   // 0000000045A4: 807C30FF 00000500
	v_mfma_f32_16x16x32_fp8_fp8 v[12:15], a[172:173], a[84:85], v[12:15]// 0000000045AC: D3F3000C 1C32A9AC
	v_mfma_f32_16x16x32_fp8_fp8 v[12:15], a[174:175], a[86:87], v[12:15]// 0000000045B4: D3F3000C 1C32ADAE
	buffer_load_dword v67, s[20:23], 0 offen lds               // 0000000045BC: E0511000 80050043
	s_add_u32 m0, 0x600, s48                                   // 0000000045C4: 807C30FF 00000600
	v_fma_f32 v88, v8, v4, v88                                 // 0000000045CC: D1CB0058 05620908
	v_fma_f32 v89, v9, v4, v89                                 // 0000000045D4: D1CB0059 05660909
	v_fma_f32 v90, v10, v4, v90                                // 0000000045DC: D1CB005A 056A090A
	v_fma_f32 v91, v11, v4, v91                                // 0000000045E4: D1CB005B 056E090B
	v_mul_f32_dpp v6, v25, v49 row_newbcast:0 row_mask:0xf bank_mask:0xf// 0000000045EC: 0A0C62FA FF015019
	v_mfma_f32_16x16x32_fp8_fp8 v[8:11], a[160:161], a[88:89], 0// 0000000045F4: D3F30008 1A02B1A0
	v_mfma_f32_16x16x32_fp8_fp8 v[8:11], a[162:163], a[90:91], v[8:11]// 0000000045FC: D3F30008 1C22B5A2
	buffer_load_dword v68, s[20:23], 0 offen lds               // 000000004604: E0511000 80050044
	s_add_u32 m0, 0x700, s48                                   // 00000000460C: 807C30FF 00000700
	v_mfma_f32_16x16x32_fp8_fp8 v[8:11], a[164:165], a[92:93], v[8:11]// 000000004614: D3F30008 1C22B9A4
	v_mfma_f32_16x16x32_fp8_fp8 v[8:11], a[166:167], a[94:95], v[8:11]// 00000000461C: D3F30008 1C22BDA6
	buffer_load_dword v69, s[20:23], 0 offen lds               // 000000004624: E0511000 80050045
	s_add_u32 m0, 0x800, s48                                   // 00000000462C: 807C30FF 00000800
	v_fma_f32 v120, v12, v4, v120                              // 000000004634: D1CB0078 05E2090C
	v_fma_f32 v121, v13, v4, v121                              // 00000000463C: D1CB0079 05E6090D
	v_fma_f32 v122, v14, v4, v122                              // 000000004644: D1CB007A 05EA090E
	v_fma_f32 v123, v15, v4, v123                              // 00000000464C: D1CB007B 05EE090F
	v_mfma_f32_16x16x32_fp8_fp8 v[12:15], a[168:169], a[88:89], 0// 000000004654: D3F3000C 1A02B1A8
	v_mfma_f32_16x16x32_fp8_fp8 v[12:15], a[170:171], a[90:91], v[12:15]// 00000000465C: D3F3000C 1C32B5AA
	buffer_load_dword v70, s[20:23], 0 offen lds               // 000000004664: E0511000 80050046
	s_add_u32 m0, 0x900, s48                                   // 00000000466C: 807C30FF 00000900
	v_mfma_f32_16x16x32_fp8_fp8 v[12:15], a[172:173], a[92:93], v[12:15]// 000000004674: D3F3000C 1C32B9AC
	v_mfma_f32_16x16x32_fp8_fp8 v[12:15], a[174:175], a[94:95], v[12:15]// 00000000467C: D3F3000C 1C32BDAE
	buffer_load_dword v71, s[20:23], 0 offen lds               // 000000004684: E0511000 80050047
	s_add_u32 m0, 0xa00, s48                                   // 00000000468C: 807C30FF 00000A00
	v_fma_f32 v92, v8, v6, v92                                 // 000000004694: D1CB005C 05720D08
	v_fma_f32 v93, v9, v6, v93                                 // 00000000469C: D1CB005D 05760D09
	v_fma_f32 v94, v10, v6, v94                                // 0000000046A4: D1CB005E 057A0D0A
	v_fma_f32 v95, v11, v6, v95                                // 0000000046AC: D1CB005F 057E0D0B
	v_mul_f32_dpp v4, v25, v50 row_newbcast:0 row_mask:0xf bank_mask:0xf// 0000000046B4: 0A0864FA FF015019
	v_mfma_f32_16x16x32_fp8_fp8 v[8:11], a[160:161], a[96:97], 0// 0000000046BC: D3F30008 1A02C1A0
	v_mfma_f32_16x16x32_fp8_fp8 v[8:11], a[162:163], a[98:99], v[8:11]// 0000000046C4: D3F30008 1C22C5A2
	buffer_load_dword v72, s[20:23], 0 offen lds               // 0000000046CC: E0511000 80050048
	s_add_u32 m0, 0xb00, s48                                   // 0000000046D4: 807C30FF 00000B00
	v_mfma_f32_16x16x32_fp8_fp8 v[8:11], a[164:165], a[100:101], v[8:11]// 0000000046DC: D3F30008 1C22C9A4
	v_mfma_f32_16x16x32_fp8_fp8 v[8:11], a[166:167], a[102:103], v[8:11]// 0000000046E4: D3F30008 1C22CDA6
	buffer_load_dword v73, s[20:23], 0 offen lds               // 0000000046EC: E0511000 80050049
	s_add_u32 m0, 0xc00, s48                                   // 0000000046F4: 807C30FF 00000C00
	v_fma_f32 v124, v12, v6, v124                              // 0000000046FC: D1CB007C 05F20D0C
	v_fma_f32 v125, v13, v6, v125                              // 000000004704: D1CB007D 05F60D0D
	v_fma_f32 v126, v14, v6, v126                              // 00000000470C: D1CB007E 05FA0D0E
	v_fma_f32 v127, v15, v6, v127                              // 000000004714: D1CB007F 05FE0D0F
	v_mfma_f32_16x16x32_fp8_fp8 v[12:15], a[168:169], a[96:97], 0// 00000000471C: D3F3000C 1A02C1A8
	v_mfma_f32_16x16x32_fp8_fp8 v[12:15], a[170:171], a[98:99], v[12:15]// 000000004724: D3F3000C 1C32C5AA
	buffer_load_dword v74, s[20:23], 0 offen lds               // 00000000472C: E0511000 8005004A
	s_add_u32 m0, 0xd00, s48                                   // 000000004734: 807C30FF 00000D00
	v_mfma_f32_16x16x32_fp8_fp8 v[12:15], a[172:173], a[100:101], v[12:15]// 00000000473C: D3F3000C 1C32C9AC
	v_mfma_f32_16x16x32_fp8_fp8 v[12:15], a[174:175], a[102:103], v[12:15]// 000000004744: D3F3000C 1C32CDAE
	buffer_load_dword v75, s[20:23], 0 offen lds               // 00000000474C: E0511000 8005004B
	s_add_u32 m0, 0xe00, s48                                   // 000000004754: 807C30FF 00000E00
	v_fma_f32 v96, v8, v4, v96                                 // 00000000475C: D1CB0060 05820908
	v_fma_f32 v97, v9, v4, v97                                 // 000000004764: D1CB0061 05860909
	v_fma_f32 v98, v10, v4, v98                                // 00000000476C: D1CB0062 058A090A
	v_fma_f32 v99, v11, v4, v99                                // 000000004774: D1CB0063 058E090B
	v_mul_f32_dpp v6, v25, v51 row_newbcast:0 row_mask:0xf bank_mask:0xf// 00000000477C: 0A0C66FA FF015019
	v_mfma_f32_16x16x32_fp8_fp8 v[8:11], a[160:161], a[104:105], 0// 000000004784: D3F30008 1A02D1A0
	v_mfma_f32_16x16x32_fp8_fp8 v[8:11], a[162:163], a[106:107], v[8:11]// 00000000478C: D3F30008 1C22D5A2
	buffer_load_dword v76, s[20:23], 0 offen lds               // 000000004794: E0511000 8005004C
	s_add_u32 m0, 0xf00, s48                                   // 00000000479C: 807C30FF 00000F00
	v_mfma_f32_16x16x32_fp8_fp8 v[8:11], a[164:165], a[108:109], v[8:11]// 0000000047A4: D3F30008 1C22D9A4
	v_mfma_f32_16x16x32_fp8_fp8 v[8:11], a[166:167], a[110:111], v[8:11]// 0000000047AC: D3F30008 1C22DDA6
	buffer_load_dword v77, s[20:23], 0 offen lds               // 0000000047B4: E0511000 8005004D
	s_add_u32 m0, 0, s49                                       // 0000000047BC: 807C3180
	v_fma_f32 v128, v12, v4, v128                              // 0000000047C0: D1CB0080 0602090C
	v_fma_f32 v129, v13, v4, v129                              // 0000000047C8: D1CB0081 0606090D
	v_fma_f32 v130, v14, v4, v130                              // 0000000047D0: D1CB0082 060A090E
	v_fma_f32 v131, v15, v4, v131                              // 0000000047D8: D1CB0083 060E090F
	v_mfma_f32_16x16x32_fp8_fp8 v[12:15], a[168:169], a[104:105], 0// 0000000047E0: D3F3000C 1A02D1A8
	v_mfma_f32_16x16x32_fp8_fp8 v[12:15], a[170:171], a[106:107], v[12:15]// 0000000047E8: D3F3000C 1C32D5AA
	buffer_load_dword v38, v30, s[28:31], 0 offen              // 0000000047F0: E0501000 8007261E
	v_mfma_f32_16x16x32_fp8_fp8 v[12:15], a[172:173], a[108:109], v[12:15]// 0000000047F8: D3F3000C 1C32D9AC
	v_mfma_f32_16x16x32_fp8_fp8 v[12:15], a[174:175], a[110:111], v[12:15]// 000000004800: D3F3000C 1C32DDAE
	buffer_load_dword v39, v31, s[28:31], 0 offen              // 000000004808: E0501000 8007271F
	v_fma_f32 v100, v8, v6, v100                               // 000000004810: D1CB0064 05920D08
	v_fma_f32 v101, v9, v6, v101                               // 000000004818: D1CB0065 05960D09
	v_fma_f32 v102, v10, v6, v102                              // 000000004820: D1CB0066 059A0D0A
	v_fma_f32 v103, v11, v6, v103                              // 000000004828: D1CB0067 059E0D0B
	v_mul_f32_dpp v4, v25, v52 row_newbcast:0 row_mask:0xf bank_mask:0xf// 000000004830: 0A0868FA FF015019
	v_mfma_f32_16x16x32_fp8_fp8 v[8:11], a[160:161], a[112:113], 0// 000000004838: D3F30008 1A02E1A0
	v_mfma_f32_16x16x32_fp8_fp8 v[8:11], a[162:163], a[114:115], v[8:11]// 000000004840: D3F30008 1C22E5A2
	buffer_load_dword v40, v32, s[28:31], 0 offen              // 000000004848: E0501000 80072820
	v_mfma_f32_16x16x32_fp8_fp8 v[8:11], a[164:165], a[116:117], v[8:11]// 000000004850: D3F30008 1C22E9A4
	v_mfma_f32_16x16x32_fp8_fp8 v[8:11], a[166:167], a[118:119], v[8:11]// 000000004858: D3F30008 1C22EDA6
	buffer_load_dword v41, v33, s[28:31], 0 offen              // 000000004860: E0501000 80072921
	v_fma_f32 v132, v12, v6, v132                              // 000000004868: D1CB0084 06120D0C
	v_fma_f32 v133, v13, v6, v133                              // 000000004870: D1CB0085 06160D0D
	v_fma_f32 v134, v14, v6, v134                              // 000000004878: D1CB0086 061A0D0E
	v_fma_f32 v135, v15, v6, v135                              // 000000004880: D1CB0087 061E0D0F
	v_mfma_f32_16x16x32_fp8_fp8 v[12:15], a[168:169], a[112:113], 0// 000000004888: D3F3000C 1A02E1A8
	v_mfma_f32_16x16x32_fp8_fp8 v[12:15], a[170:171], a[114:115], v[12:15]// 000000004890: D3F3000C 1C32E5AA
	buffer_load_dword v42, v34, s[28:31], 0 offen              // 000000004898: E0501000 80072A22
	v_mfma_f32_16x16x32_fp8_fp8 v[12:15], a[172:173], a[116:117], v[12:15]// 0000000048A0: D3F3000C 1C32E9AC
	v_mfma_f32_16x16x32_fp8_fp8 v[12:15], a[174:175], a[118:119], v[12:15]// 0000000048A8: D3F3000C 1C32EDAE
	buffer_load_dword v43, v35, s[28:31], 0 offen              // 0000000048B0: E0501000 80072B23
	v_fma_f32 v104, v8, v4, v104                               // 0000000048B8: D1CB0068 05A20908
	v_fma_f32 v105, v9, v4, v105                               // 0000000048C0: D1CB0069 05A60909
	v_fma_f32 v106, v10, v4, v106                              // 0000000048C8: D1CB006A 05AA090A
	v_fma_f32 v107, v11, v4, v107                              // 0000000048D0: D1CB006B 05AE090B
	v_mul_f32_dpp v6, v25, v53 row_newbcast:0 row_mask:0xf bank_mask:0xf// 0000000048D8: 0A0C6AFA FF015019
	v_mfma_f32_16x16x32_fp8_fp8 v[8:11], a[160:161], a[120:121], 0// 0000000048E0: D3F30008 1A02F1A0
	v_mfma_f32_16x16x32_fp8_fp8 v[8:11], a[162:163], a[122:123], v[8:11]// 0000000048E8: D3F30008 1C22F5A2
	buffer_load_dword v44, v36, s[28:31], 0 offen              // 0000000048F0: E0501000 80072C24
	v_mfma_f32_16x16x32_fp8_fp8 v[8:11], a[164:165], a[124:125], v[8:11]// 0000000048F8: D3F30008 1C22F9A4
	v_mfma_f32_16x16x32_fp8_fp8 v[8:11], a[166:167], a[126:127], v[8:11]// 000000004900: D3F30008 1C22FDA6
	buffer_load_dword v45, v37, s[28:31], 0 offen              // 000000004908: E0501000 80072D25
	v_fma_f32 v136, v12, v4, v136                              // 000000004910: D1CB0088 0622090C
	v_fma_f32 v137, v13, v4, v137                              // 000000004918: D1CB0089 0626090D
	v_fma_f32 v138, v14, v4, v138                              // 000000004920: D1CB008A 062A090E
	v_fma_f32 v139, v15, v4, v139                              // 000000004928: D1CB008B 062E090F
	v_mfma_f32_16x16x32_fp8_fp8 v[12:15], a[168:169], a[120:121], 0// 000000004930: D3F3000C 1A02F1A8
	v_mfma_f32_16x16x32_fp8_fp8 v[12:15], a[170:171], a[122:123], v[12:15]// 000000004938: D3F3000C 1C32F5AA
	v_mfma_f32_16x16x32_fp8_fp8 v[12:15], a[172:173], a[124:125], v[12:15]// 000000004940: D3F3000C 1C32F9AC
	v_mfma_f32_16x16x32_fp8_fp8 v[12:15], a[174:175], a[126:127], v[12:15]// 000000004948: D3F3000C 1C32FDAE
	v_fma_f32 v108, v8, v6, v108                               // 000000004950: D1CB006C 05B20D08
	v_fma_f32 v109, v9, v6, v109                               // 000000004958: D1CB006D 05B60D09
	v_fma_f32 v110, v10, v6, v110                              // 000000004960: D1CB006E 05BA0D0A
	v_fma_f32 v111, v11, v6, v111                              // 000000004968: D1CB006F 05BE0D0B
	v_fma_f32 v140, v12, v6, v140                              // 000000004970: D1CB008C 06320D0C
	v_fma_f32 v141, v13, v6, v141                              // 000000004978: D1CB008D 06360D0D
	v_fma_f32 v142, v14, v6, v142                              // 000000004980: D1CB008E 063A0D0E
	v_fma_f32 v143, v15, v6, v143                              // 000000004988: D1CB008F 063E0D0F
	s_waitcnt vmcnt(29)                                        // 000000004990: BF8C4F7D
	s_barrier                                                  // 000000004994: BF8A0000
	v_mul_f32_dpp v4, v28, v46 row_newbcast:0 row_mask:0xf bank_mask:0xf// 000000004998: 0A085CFA FF01501C
	v_mfma_f32_16x16x32_fp8_fp8 v[8:11], a[128:129], a[64:65], 0// 0000000049A0: D3F30008 1A028180
	buffer_load_dword v29, v23, s[32:35], 0 offen              // 0000000049A8: E0501000 80081D17
	v_mfma_f32_16x16x32_fp8_fp8 v[8:11], a[130:131], a[66:67], v[8:11]// 0000000049B0: D3F30008 1C228582
	buffer_load_dwordx4 a[160:163], v78, s[84:87], 0 offen     // 0000000049B8: E05C1000 8095A04E
	v_mfma_f32_16x16x32_fp8_fp8 v[8:11], a[132:133], a[68:69], v[8:11]// 0000000049C0: D3F30008 1C228984
	v_mfma_f32_16x16x32_fp8_fp8 v[8:11], a[134:135], a[70:71], v[8:11]// 0000000049C8: D3F30008 1C228D86
	ds_read_b128 a[0:3], v2 offset:33024                       // 0000000049D0: DBFE8100 00000002
	ds_read_b128 a[4:7], v2 offset:33088                       // 0000000049D8: DBFE8140 04000002
	v_mfma_f32_16x16x32_fp8_fp8 v[12:15], a[136:137], a[64:65], 0// 0000000049E0: D3F3000C 1A028188
	v_mfma_f32_16x16x32_fp8_fp8 v[12:15], a[138:139], a[66:67], v[12:15]// 0000000049E8: D3F3000C 1C32858A
	buffer_load_dwordx4 a[164:167], v78, s[84:87], 0 offen offset:1024// 0000000049F0: E05C1400 8095A44E
	v_mfma_f32_16x16x32_fp8_fp8 v[12:15], a[140:141], a[68:69], v[12:15]// 0000000049F8: D3F3000C 1C32898C
	v_mfma_f32_16x16x32_fp8_fp8 v[12:15], a[142:143], a[70:71], v[12:15]// 000000004A00: D3F3000C 1C328D8E
	ds_read_b128 a[8:11], v2 offset:33536                      // 000000004A08: DBFE8300 08000002
	ds_read_b128 a[12:15], v2 offset:33600                     // 000000004A10: DBFE8340 0C000002
	v_fma_f32 v144, v8, v4, v144                               // 000000004A18: D1CB0090 06420908
	v_fma_f32 v145, v9, v4, v145                               // 000000004A20: D1CB0091 06460909
	v_fma_f32 v146, v10, v4, v146                              // 000000004A28: D1CB0092 064A090A
	v_fma_f32 v147, v11, v4, v147                              // 000000004A30: D1CB0093 064E090B
	v_mul_f32_dpp v6, v28, v47 row_newbcast:0 row_mask:0xf bank_mask:0xf// 000000004A38: 0A0C5EFA FF01501C
	v_mfma_f32_16x16x32_fp8_fp8 v[8:11], a[128:129], a[72:73], 0// 000000004A40: D3F30008 1A029180
	v_mfma_f32_16x16x32_fp8_fp8 v[8:11], a[130:131], a[74:75], v[8:11]// 000000004A48: D3F30008 1C229582
	buffer_load_dwordx4 a[168:171], v79, s[84:87], 0 offen     // 000000004A50: E05C1000 8095A84F
	v_mfma_f32_16x16x32_fp8_fp8 v[8:11], a[132:133], a[76:77], v[8:11]// 000000004A58: D3F30008 1C229984
	v_mfma_f32_16x16x32_fp8_fp8 v[8:11], a[134:135], a[78:79], v[8:11]// 000000004A60: D3F30008 1C229D86
	ds_read_b128 a[16:19], v2 offset:34048                     // 000000004A68: DBFE8500 10000002
	ds_read_b128 a[20:23], v2 offset:34112                     // 000000004A70: DBFE8540 14000002
	v_fma_f32 v176, v12, v4, v176                              // 000000004A78: D1CB00B0 06C2090C
	v_fma_f32 v177, v13, v4, v177                              // 000000004A80: D1CB00B1 06C6090D
	v_fma_f32 v178, v14, v4, v178                              // 000000004A88: D1CB00B2 06CA090E
	v_fma_f32 v179, v15, v4, v179                              // 000000004A90: D1CB00B3 06CE090F
	v_mfma_f32_16x16x32_fp8_fp8 v[12:15], a[136:137], a[72:73], 0// 000000004A98: D3F3000C 1A029188
	v_mfma_f32_16x16x32_fp8_fp8 v[12:15], a[138:139], a[74:75], v[12:15]// 000000004AA0: D3F3000C 1C32958A
	buffer_load_dwordx4 a[172:175], v79, s[84:87], 0 offen offset:1024// 000000004AA8: E05C1400 8095AC4F
	v_mfma_f32_16x16x32_fp8_fp8 v[12:15], a[140:141], a[76:77], v[12:15]// 000000004AB0: D3F3000C 1C32998C
	v_mfma_f32_16x16x32_fp8_fp8 v[12:15], a[142:143], a[78:79], v[12:15]// 000000004AB8: D3F3000C 1C329D8E
	ds_read_b128 a[24:27], v2 offset:34560                     // 000000004AC0: DBFE8700 18000002
	ds_read_b128 a[28:31], v2 offset:34624                     // 000000004AC8: DBFE8740 1C000002
	v_fma_f32 v148, v8, v6, v148                               // 000000004AD0: D1CB0094 06520D08
	v_fma_f32 v149, v9, v6, v149                               // 000000004AD8: D1CB0095 06560D09
	v_fma_f32 v150, v10, v6, v150                              // 000000004AE0: D1CB0096 065A0D0A
	v_fma_f32 v151, v11, v6, v151                              // 000000004AE8: D1CB0097 065E0D0B
	v_mul_f32_dpp v4, v28, v48 row_newbcast:0 row_mask:0xf bank_mask:0xf// 000000004AF0: 0A0860FA FF01501C
	v_mfma_f32_16x16x32_fp8_fp8 v[8:11], a[128:129], a[80:81], 0// 000000004AF8: D3F30008 1A02A180
	v_mfma_f32_16x16x32_fp8_fp8 v[8:11], a[130:131], a[82:83], v[8:11]// 000000004B00: D3F30008 1C22A582
	v_mfma_f32_16x16x32_fp8_fp8 v[8:11], a[132:133], a[84:85], v[8:11]// 000000004B08: D3F30008 1C22A984
	v_mfma_f32_16x16x32_fp8_fp8 v[8:11], a[134:135], a[86:87], v[8:11]// 000000004B10: D3F30008 1C22AD86
	ds_read_b128 a[32:35], v2 offset:35072                     // 000000004B18: DBFE8900 20000002
	ds_read_b128 a[36:39], v2 offset:35136                     // 000000004B20: DBFE8940 24000002
	v_fma_f32 v180, v12, v6, v180                              // 000000004B28: D1CB00B4 06D20D0C
	v_fma_f32 v181, v13, v6, v181                              // 000000004B30: D1CB00B5 06D60D0D
	v_fma_f32 v182, v14, v6, v182                              // 000000004B38: D1CB00B6 06DA0D0E
	v_fma_f32 v183, v15, v6, v183                              // 000000004B40: D1CB00B7 06DE0D0F
	v_mfma_f32_16x16x32_fp8_fp8 v[12:15], a[136:137], a[80:81], 0// 000000004B48: D3F3000C 1A02A188
	v_mfma_f32_16x16x32_fp8_fp8 v[12:15], a[138:139], a[82:83], v[12:15]// 000000004B50: D3F3000C 1C32A58A
	v_mfma_f32_16x16x32_fp8_fp8 v[12:15], a[140:141], a[84:85], v[12:15]// 000000004B58: D3F3000C 1C32A98C
	v_mfma_f32_16x16x32_fp8_fp8 v[12:15], a[142:143], a[86:87], v[12:15]// 000000004B60: D3F3000C 1C32AD8E
	ds_read_b128 a[40:43], v2 offset:35584                     // 000000004B68: DBFE8B00 28000002
	ds_read_b128 a[44:47], v2 offset:35648                     // 000000004B70: DBFE8B40 2C000002
	v_fma_f32 v152, v8, v4, v152                               // 000000004B78: D1CB0098 06620908
	v_fma_f32 v153, v9, v4, v153                               // 000000004B80: D1CB0099 06660909
	v_fma_f32 v154, v10, v4, v154                              // 000000004B88: D1CB009A 066A090A
	v_fma_f32 v155, v11, v4, v155                              // 000000004B90: D1CB009B 066E090B
	v_mul_f32_dpp v6, v28, v49 row_newbcast:0 row_mask:0xf bank_mask:0xf// 000000004B98: 0A0C62FA FF01501C
	v_mfma_f32_16x16x32_fp8_fp8 v[8:11], a[128:129], a[88:89], 0// 000000004BA0: D3F30008 1A02B180
	v_mfma_f32_16x16x32_fp8_fp8 v[8:11], a[130:131], a[90:91], v[8:11]// 000000004BA8: D3F30008 1C22B582
	v_mfma_f32_16x16x32_fp8_fp8 v[8:11], a[132:133], a[92:93], v[8:11]// 000000004BB0: D3F30008 1C22B984
	v_mfma_f32_16x16x32_fp8_fp8 v[8:11], a[134:135], a[94:95], v[8:11]// 000000004BB8: D3F30008 1C22BD86
	ds_read_b128 a[48:51], v2 offset:36096                     // 000000004BC0: DBFE8D00 30000002
	ds_read_b128 a[52:55], v2 offset:36160                     // 000000004BC8: DBFE8D40 34000002
	v_fma_f32 v184, v12, v4, v184                              // 000000004BD0: D1CB00B8 06E2090C
	v_fma_f32 v185, v13, v4, v185                              // 000000004BD8: D1CB00B9 06E6090D
	v_fma_f32 v186, v14, v4, v186                              // 000000004BE0: D1CB00BA 06EA090E
	v_fma_f32 v187, v15, v4, v187                              // 000000004BE8: D1CB00BB 06EE090F
	v_mfma_f32_16x16x32_fp8_fp8 v[12:15], a[136:137], a[88:89], 0// 000000004BF0: D3F3000C 1A02B188
	v_mfma_f32_16x16x32_fp8_fp8 v[12:15], a[138:139], a[90:91], v[12:15]// 000000004BF8: D3F3000C 1C32B58A
	v_mfma_f32_16x16x32_fp8_fp8 v[12:15], a[140:141], a[92:93], v[12:15]// 000000004C00: D3F3000C 1C32B98C
	v_mfma_f32_16x16x32_fp8_fp8 v[12:15], a[142:143], a[94:95], v[12:15]// 000000004C08: D3F3000C 1C32BD8E
	ds_read_b128 a[56:59], v2 offset:36608                     // 000000004C10: DBFE8F00 38000002
	ds_read_b128 a[60:63], v2 offset:36672                     // 000000004C18: DBFE8F40 3C000002
	v_fma_f32 v156, v8, v6, v156                               // 000000004C20: D1CB009C 06720D08
	v_fma_f32 v157, v9, v6, v157                               // 000000004C28: D1CB009D 06760D09
	v_fma_f32 v158, v10, v6, v158                              // 000000004C30: D1CB009E 067A0D0A
	v_fma_f32 v159, v11, v6, v159                              // 000000004C38: D1CB009F 067E0D0B
	v_mul_f32_dpp v4, v28, v50 row_newbcast:0 row_mask:0xf bank_mask:0xf// 000000004C40: 0A0864FA FF01501C
	v_mfma_f32_16x16x32_fp8_fp8 v[8:11], a[128:129], a[96:97], 0// 000000004C48: D3F30008 1A02C180
	v_mfma_f32_16x16x32_fp8_fp8 v[8:11], a[130:131], a[98:99], v[8:11]// 000000004C50: D3F30008 1C22C582
	v_mfma_f32_16x16x32_fp8_fp8 v[8:11], a[132:133], a[100:101], v[8:11]// 000000004C58: D3F30008 1C22C984
	v_mfma_f32_16x16x32_fp8_fp8 v[8:11], a[134:135], a[102:103], v[8:11]// 000000004C60: D3F30008 1C22CD86
	v_fma_f32 v188, v12, v6, v188                              // 000000004C68: D1CB00BC 06F20D0C
	v_fma_f32 v189, v13, v6, v189                              // 000000004C70: D1CB00BD 06F60D0D
	v_fma_f32 v190, v14, v6, v190                              // 000000004C78: D1CB00BE 06FA0D0E
	v_fma_f32 v191, v15, v6, v191                              // 000000004C80: D1CB00BF 06FE0D0F
	v_mfma_f32_16x16x32_fp8_fp8 v[12:15], a[136:137], a[96:97], 0// 000000004C88: D3F3000C 1A02C188
	v_mfma_f32_16x16x32_fp8_fp8 v[12:15], a[138:139], a[98:99], v[12:15]// 000000004C90: D3F3000C 1C32C58A
	v_mfma_f32_16x16x32_fp8_fp8 v[12:15], a[140:141], a[100:101], v[12:15]// 000000004C98: D3F3000C 1C32C98C
	v_mfma_f32_16x16x32_fp8_fp8 v[12:15], a[142:143], a[102:103], v[12:15]// 000000004CA0: D3F3000C 1C32CD8E
	v_fma_f32 v160, v8, v4, v160                               // 000000004CA8: D1CB00A0 06820908
	v_fma_f32 v161, v9, v4, v161                               // 000000004CB0: D1CB00A1 06860909
	v_fma_f32 v162, v10, v4, v162                              // 000000004CB8: D1CB00A2 068A090A
	v_fma_f32 v163, v11, v4, v163                              // 000000004CC0: D1CB00A3 068E090B
	v_mul_f32_dpp v6, v28, v51 row_newbcast:0 row_mask:0xf bank_mask:0xf// 000000004CC8: 0A0C66FA FF01501C
	v_mfma_f32_16x16x32_fp8_fp8 v[8:11], a[128:129], a[104:105], 0// 000000004CD0: D3F30008 1A02D180
	v_mfma_f32_16x16x32_fp8_fp8 v[8:11], a[130:131], a[106:107], v[8:11]// 000000004CD8: D3F30008 1C22D582
	v_mfma_f32_16x16x32_fp8_fp8 v[8:11], a[132:133], a[108:109], v[8:11]// 000000004CE0: D3F30008 1C22D984
	v_mfma_f32_16x16x32_fp8_fp8 v[8:11], a[134:135], a[110:111], v[8:11]// 000000004CE8: D3F30008 1C22DD86
	v_fma_f32 v192, v12, v4, v192                              // 000000004CF0: D1CB00C0 0702090C
	v_fma_f32 v193, v13, v4, v193                              // 000000004CF8: D1CB00C1 0706090D
	v_fma_f32 v194, v14, v4, v194                              // 000000004D00: D1CB00C2 070A090E
	v_fma_f32 v195, v15, v4, v195                              // 000000004D08: D1CB00C3 070E090F
	v_mfma_f32_16x16x32_fp8_fp8 v[12:15], a[136:137], a[104:105], 0// 000000004D10: D3F3000C 1A02D188
	v_mfma_f32_16x16x32_fp8_fp8 v[12:15], a[138:139], a[106:107], v[12:15]// 000000004D18: D3F3000C 1C32D58A
	v_mfma_f32_16x16x32_fp8_fp8 v[12:15], a[140:141], a[108:109], v[12:15]// 000000004D20: D3F3000C 1C32D98C
	v_mfma_f32_16x16x32_fp8_fp8 v[12:15], a[142:143], a[110:111], v[12:15]// 000000004D28: D3F3000C 1C32DD8E
	v_fma_f32 v164, v8, v6, v164                               // 000000004D30: D1CB00A4 06920D08
	v_fma_f32 v165, v9, v6, v165                               // 000000004D38: D1CB00A5 06960D09
	v_fma_f32 v166, v10, v6, v166                              // 000000004D40: D1CB00A6 069A0D0A
	v_fma_f32 v167, v11, v6, v167                              // 000000004D48: D1CB00A7 069E0D0B
	v_mul_f32_dpp v4, v28, v52 row_newbcast:0 row_mask:0xf bank_mask:0xf// 000000004D50: 0A0868FA FF01501C
	v_mfma_f32_16x16x32_fp8_fp8 v[8:11], a[128:129], a[112:113], 0// 000000004D58: D3F30008 1A02E180
	v_mfma_f32_16x16x32_fp8_fp8 v[8:11], a[130:131], a[114:115], v[8:11]// 000000004D60: D3F30008 1C22E582
	v_mfma_f32_16x16x32_fp8_fp8 v[8:11], a[132:133], a[116:117], v[8:11]// 000000004D68: D3F30008 1C22E984
	v_mfma_f32_16x16x32_fp8_fp8 v[8:11], a[134:135], a[118:119], v[8:11]// 000000004D70: D3F30008 1C22ED86
	v_fma_f32 v196, v12, v6, v196                              // 000000004D78: D1CB00C4 07120D0C
	v_fma_f32 v197, v13, v6, v197                              // 000000004D80: D1CB00C5 07160D0D
	v_fma_f32 v198, v14, v6, v198                              // 000000004D88: D1CB00C6 071A0D0E
	v_fma_f32 v199, v15, v6, v199                              // 000000004D90: D1CB00C7 071E0D0F
	v_mfma_f32_16x16x32_fp8_fp8 v[12:15], a[136:137], a[112:113], 0// 000000004D98: D3F3000C 1A02E188
	v_mfma_f32_16x16x32_fp8_fp8 v[12:15], a[138:139], a[114:115], v[12:15]// 000000004DA0: D3F3000C 1C32E58A
	v_mfma_f32_16x16x32_fp8_fp8 v[12:15], a[140:141], a[116:117], v[12:15]// 000000004DA8: D3F3000C 1C32E98C
	v_mfma_f32_16x16x32_fp8_fp8 v[12:15], a[142:143], a[118:119], v[12:15]// 000000004DB0: D3F3000C 1C32ED8E
	v_fma_f32 v168, v8, v4, v168                               // 000000004DB8: D1CB00A8 06A20908
	v_fma_f32 v169, v9, v4, v169                               // 000000004DC0: D1CB00A9 06A60909
	v_fma_f32 v170, v10, v4, v170                              // 000000004DC8: D1CB00AA 06AA090A
	v_fma_f32 v171, v11, v4, v171                              // 000000004DD0: D1CB00AB 06AE090B
	v_mul_f32_dpp v6, v28, v53 row_newbcast:0 row_mask:0xf bank_mask:0xf// 000000004DD8: 0A0C6AFA FF01501C
	v_mfma_f32_16x16x32_fp8_fp8 v[8:11], a[128:129], a[120:121], 0// 000000004DE0: D3F30008 1A02F180
	s_add_u32 s60, 0x180, s80                                  // 000000004DE8: 803C50FF 00000180
	s_cmp_lt_u32 s60, s81                                      // 000000004DF0: BF0A513C
	s_cselect_b32 s57, s57, 0                                  // 000000004DF4: 85398039
	s_cselect_b32 s3, s3, 0                                    // 000000004DF8: 85038003
	v_mfma_f32_16x16x32_fp8_fp8 v[8:11], a[130:131], a[122:123], v[8:11]// 000000004DFC: D3F30008 1C22F582
	s_add_u32 s60, 0x100, s80                                  // 000000004E04: 803C50FF 00000100
	s_cmp_lt_u32 s60, s81                                      // 000000004E0C: BF0A513C
	s_cselect_b32 s58, s58, 0                                  // 000000004E10: 853A803A
	v_mfma_f32_16x16x32_fp8_fp8 v[8:11], a[132:133], a[124:125], v[8:11]// 000000004E14: D3F30008 1C22F984
	s_add_u32 s60, 0x100, s80                                  // 000000004E1C: 803C50FF 00000100
	s_cmp_lt_u32 s60, s81                                      // 000000004E24: BF0A513C
	s_cselect_b32 s83, s83, 0                                  // 000000004E28: 85538053
	s_cselect_b32 s4, s4, 0                                    // 000000004E2C: 85048004
	v_mfma_f32_16x16x32_fp8_fp8 v[8:11], a[134:135], a[126:127], v[8:11]// 000000004E30: D3F30008 1C22FD86
	s_add_u32 s24, s58, s24                                    // 000000004E38: 8018183A
	s_addc_u32 s25, 0, s25                                     // 000000004E3C: 82191980
	v_fma_f32 v200, v12, v4, v200                              // 000000004E40: D1CB00C8 0722090C
	v_fma_f32 v201, v13, v4, v201                              // 000000004E48: D1CB00C9 0726090D
	v_fma_f32 v202, v14, v4, v202                              // 000000004E50: D1CB00CA 072A090E
	v_fma_f32 v203, v15, v4, v203                              // 000000004E58: D1CB00CB 072E090F
	v_mfma_f32_16x16x32_fp8_fp8 v[12:15], a[136:137], a[120:121], 0// 000000004E60: D3F3000C 1A02F188
	s_add_u32 s20, s57, s20                                    // 000000004E68: 80141439
	s_addc_u32 s21, 0, s21                                     // 000000004E6C: 82151580
	s_add_u32 s28, s3, s28                                     // 000000004E70: 801C1C03
	s_addc_u32 s29, 0, s29                                     // 000000004E74: 821D1D80
	v_mfma_f32_16x16x32_fp8_fp8 v[12:15], a[138:139], a[122:123], v[12:15]// 000000004E78: D3F3000C 1C32F58A
	s_add_u32 s84, s83, s84                                    // 000000004E80: 80545453
	s_addc_u32 s85, 0, s85                                     // 000000004E84: 82555580
	v_mfma_f32_16x16x32_fp8_fp8 v[12:15], a[140:141], a[124:125], v[12:15]// 000000004E88: D3F3000C 1C32F98C
	s_add_u32 s32, s4, s32                                     // 000000004E90: 80202004
	s_addc_u32 s33, 0, s33                                     // 000000004E94: 82212180
	v_mfma_f32_16x16x32_fp8_fp8 v[12:15], a[142:143], a[126:127], v[12:15]// 000000004E98: D3F3000C 1C32FD8E
	v_fma_f32 v172, v8, v6, v172                               // 000000004EA0: D1CB00AC 06B20D08
	v_fma_f32 v173, v9, v6, v173                               // 000000004EA8: D1CB00AD 06B60D09
	v_fma_f32 v174, v10, v6, v174                              // 000000004EB0: D1CB00AE 06BA0D0A
	v_fma_f32 v175, v11, v6, v175                              // 000000004EB8: D1CB00AF 06BE0D0B
	v_fma_f32 v204, v12, v6, v204                              // 000000004EC0: D1CB00CC 07320D0C
	v_fma_f32 v205, v13, v6, v205                              // 000000004EC8: D1CB00CD 07360D0D
	v_fma_f32 v206, v14, v6, v206                              // 000000004ED0: D1CB00CE 073A0D0E
	v_fma_f32 v207, v15, v6, v207                              // 000000004ED8: D1CB00CF 073E0D0F
	s_addk_i32 s80, 0x80                                       // 000000004EE0: B7500080
	s_cmp_lt_i32 s80, s81                                      // 000000004EE4: BF045150
	s_cbranch_scc0 label_1440                                  // 000000004EE8: BF840B05
	s_waitcnt vmcnt(29) lgkmcnt(0)                             // 000000004EEC: BF8C407D
	v_mul_f32_dpp v4, v26, v54 row_newbcast:0 row_mask:0xf bank_mask:0xf// 000000004EF0: 0A086CFA FF01501A
	v_mfma_f32_16x16x32_fp8_fp8 v[8:11], a[144:145], a[0:1], 0 // 000000004EF8: D3F30008 1A020190
	buffer_load_dword v24, v22, s[32:35], 0 offen              // 000000004F00: E0501000 80081816
	v_mfma_f32_16x16x32_fp8_fp8 v[8:11], a[146:147], a[2:3], v[8:11]// 000000004F08: D3F30008 1C220592
	buffer_load_dwordx4 a[128:131], v78, s[24:27], 0 offen     // 000000004F10: E05C1000 8086804E
	v_mfma_f32_16x16x32_fp8_fp8 v[8:11], a[148:149], a[4:5], v[8:11]// 000000004F18: D3F30008 1C220994
	v_mfma_f32_16x16x32_fp8_fp8 v[8:11], a[150:151], a[6:7], v[8:11]// 000000004F20: D3F30008 1C220D96
	v_mfma_f32_16x16x32_fp8_fp8 v[12:15], a[152:153], a[0:1], 0// 000000004F28: D3F3000C 1A020198
	v_mfma_f32_16x16x32_fp8_fp8 v[12:15], a[154:155], a[2:3], v[12:15]// 000000004F30: D3F3000C 1C32059A
	buffer_load_dwordx4 a[132:135], v78, s[24:27], 0 offen offset:1024// 000000004F38: E05C1400 8086844E
	v_mfma_f32_16x16x32_fp8_fp8 v[12:15], a[156:157], a[4:5], v[12:15]// 000000004F40: D3F3000C 1C32099C
	v_mfma_f32_16x16x32_fp8_fp8 v[12:15], a[158:159], a[6:7], v[12:15]// 000000004F48: D3F3000C 1C320D9E
	v_fma_f32 v80, v8, v4, v80                                 // 000000004F50: D1CB0050 05420908
	v_fma_f32 v81, v9, v4, v81                                 // 000000004F58: D1CB0051 05460909
	v_fma_f32 v82, v10, v4, v82                                // 000000004F60: D1CB0052 054A090A
	v_fma_f32 v83, v11, v4, v83                                // 000000004F68: D1CB0053 054E090B
	v_mul_f32_dpp v6, v26, v55 row_newbcast:0 row_mask:0xf bank_mask:0xf// 000000004F70: 0A0C6EFA FF01501A
	v_mfma_f32_16x16x32_fp8_fp8 v[8:11], a[144:145], a[8:9], 0 // 000000004F78: D3F30008 1A021190
	v_mfma_f32_16x16x32_fp8_fp8 v[8:11], a[146:147], a[10:11], v[8:11]// 000000004F80: D3F30008 1C221592
	buffer_load_dwordx4 a[136:139], v79, s[24:27], 0 offen     // 000000004F88: E05C1000 8086884F
	v_mfma_f32_16x16x32_fp8_fp8 v[8:11], a[148:149], a[12:13], v[8:11]// 000000004F90: D3F30008 1C221994
	v_mfma_f32_16x16x32_fp8_fp8 v[8:11], a[150:151], a[14:15], v[8:11]// 000000004F98: D3F30008 1C221D96
	v_fma_f32 v112, v12, v4, v112                              // 000000004FA0: D1CB0070 05C2090C
	v_fma_f32 v113, v13, v4, v113                              // 000000004FA8: D1CB0071 05C6090D
	v_fma_f32 v114, v14, v4, v114                              // 000000004FB0: D1CB0072 05CA090E
	v_fma_f32 v115, v15, v4, v115                              // 000000004FB8: D1CB0073 05CE090F
	v_mfma_f32_16x16x32_fp8_fp8 v[12:15], a[152:153], a[8:9], 0// 000000004FC0: D3F3000C 1A021198
	v_mfma_f32_16x16x32_fp8_fp8 v[12:15], a[154:155], a[10:11], v[12:15]// 000000004FC8: D3F3000C 1C32159A
	buffer_load_dwordx4 a[140:143], v79, s[24:27], 0 offen offset:1024// 000000004FD0: E05C1400 80868C4F
	buffer_load_dword v62, s[20:23], 0 offen lds               // 000000004FD8: E0511000 8005003E
	s_add_u32 m0, 0x100, s49                                   // 000000004FE0: 807C31FF 00000100
	v_mfma_f32_16x16x32_fp8_fp8 v[12:15], a[156:157], a[12:13], v[12:15]// 000000004FE8: D3F3000C 1C32199C
	v_mfma_f32_16x16x32_fp8_fp8 v[12:15], a[158:159], a[14:15], v[12:15]// 000000004FF0: D3F3000C 1C321D9E
	buffer_load_dword v63, s[20:23], 0 offen lds               // 000000004FF8: E0511000 8005003F
	s_add_u32 m0, 0x200, s49                                   // 000000005000: 807C31FF 00000200
	v_fma_f32 v84, v8, v6, v84                                 // 000000005008: D1CB0054 05520D08
	v_fma_f32 v85, v9, v6, v85                                 // 000000005010: D1CB0055 05560D09
	v_fma_f32 v86, v10, v6, v86                                // 000000005018: D1CB0056 055A0D0A
	v_fma_f32 v87, v11, v6, v87                                // 000000005020: D1CB0057 055E0D0B
	v_mul_f32_dpp v4, v26, v56 row_newbcast:0 row_mask:0xf bank_mask:0xf// 000000005028: 0A0870FA FF01501A
	v_mfma_f32_16x16x32_fp8_fp8 v[8:11], a[144:145], a[16:17], 0// 000000005030: D3F30008 1A022190
	v_mfma_f32_16x16x32_fp8_fp8 v[8:11], a[146:147], a[18:19], v[8:11]// 000000005038: D3F30008 1C222592
	buffer_load_dword v64, s[20:23], 0 offen lds               // 000000005040: E0511000 80050040
	s_add_u32 m0, 0x300, s49                                   // 000000005048: 807C31FF 00000300
	v_mfma_f32_16x16x32_fp8_fp8 v[8:11], a[148:149], a[20:21], v[8:11]// 000000005050: D3F30008 1C222994
	v_mfma_f32_16x16x32_fp8_fp8 v[8:11], a[150:151], a[22:23], v[8:11]// 000000005058: D3F30008 1C222D96
	buffer_load_dword v65, s[20:23], 0 offen lds               // 000000005060: E0511000 80050041
	s_add_u32 m0, 0x400, s49                                   // 000000005068: 807C31FF 00000400
	v_fma_f32 v116, v12, v6, v116                              // 000000005070: D1CB0074 05D20D0C
	v_fma_f32 v117, v13, v6, v117                              // 000000005078: D1CB0075 05D60D0D
	v_fma_f32 v118, v14, v6, v118                              // 000000005080: D1CB0076 05DA0D0E
	v_fma_f32 v119, v15, v6, v119                              // 000000005088: D1CB0077 05DE0D0F
	v_mfma_f32_16x16x32_fp8_fp8 v[12:15], a[152:153], a[16:17], 0// 000000005090: D3F3000C 1A022198
	v_mfma_f32_16x16x32_fp8_fp8 v[12:15], a[154:155], a[18:19], v[12:15]// 000000005098: D3F3000C 1C32259A
	buffer_load_dword v66, s[20:23], 0 offen lds               // 0000000050A0: E0511000 80050042
	s_add_u32 m0, 0x500, s49                                   // 0000000050A8: 807C31FF 00000500
	v_mfma_f32_16x16x32_fp8_fp8 v[12:15], a[156:157], a[20:21], v[12:15]// 0000000050B0: D3F3000C 1C32299C
	v_mfma_f32_16x16x32_fp8_fp8 v[12:15], a[158:159], a[22:23], v[12:15]// 0000000050B8: D3F3000C 1C322D9E
	buffer_load_dword v67, s[20:23], 0 offen lds               // 0000000050C0: E0511000 80050043
	s_add_u32 m0, 0x600, s49                                   // 0000000050C8: 807C31FF 00000600
	v_fma_f32 v88, v8, v4, v88                                 // 0000000050D0: D1CB0058 05620908
	v_fma_f32 v89, v9, v4, v89                                 // 0000000050D8: D1CB0059 05660909
	v_fma_f32 v90, v10, v4, v90                                // 0000000050E0: D1CB005A 056A090A
	v_fma_f32 v91, v11, v4, v91                                // 0000000050E8: D1CB005B 056E090B
	v_mul_f32_dpp v6, v26, v57 row_newbcast:0 row_mask:0xf bank_mask:0xf// 0000000050F0: 0A0C72FA FF01501A
	v_mfma_f32_16x16x32_fp8_fp8 v[8:11], a[144:145], a[24:25], 0// 0000000050F8: D3F30008 1A023190
	v_mfma_f32_16x16x32_fp8_fp8 v[8:11], a[146:147], a[26:27], v[8:11]// 000000005100: D3F30008 1C223592
	buffer_load_dword v68, s[20:23], 0 offen lds               // 000000005108: E0511000 80050044
	s_add_u32 m0, 0x700, s49                                   // 000000005110: 807C31FF 00000700
	v_mfma_f32_16x16x32_fp8_fp8 v[8:11], a[148:149], a[28:29], v[8:11]// 000000005118: D3F30008 1C223994
	v_mfma_f32_16x16x32_fp8_fp8 v[8:11], a[150:151], a[30:31], v[8:11]// 000000005120: D3F30008 1C223D96
	buffer_load_dword v69, s[20:23], 0 offen lds               // 000000005128: E0511000 80050045
	s_add_u32 m0, 0x800, s49                                   // 000000005130: 807C31FF 00000800
	v_fma_f32 v120, v12, v4, v120                              // 000000005138: D1CB0078 05E2090C
	v_fma_f32 v121, v13, v4, v121                              // 000000005140: D1CB0079 05E6090D
	v_fma_f32 v122, v14, v4, v122                              // 000000005148: D1CB007A 05EA090E
	v_fma_f32 v123, v15, v4, v123                              // 000000005150: D1CB007B 05EE090F
	v_mfma_f32_16x16x32_fp8_fp8 v[12:15], a[152:153], a[24:25], 0// 000000005158: D3F3000C 1A023198
	v_mfma_f32_16x16x32_fp8_fp8 v[12:15], a[154:155], a[26:27], v[12:15]// 000000005160: D3F3000C 1C32359A
	buffer_load_dword v70, s[20:23], 0 offen lds               // 000000005168: E0511000 80050046
	s_add_u32 m0, 0x900, s49                                   // 000000005170: 807C31FF 00000900
	v_mfma_f32_16x16x32_fp8_fp8 v[12:15], a[156:157], a[28:29], v[12:15]// 000000005178: D3F3000C 1C32399C
	v_mfma_f32_16x16x32_fp8_fp8 v[12:15], a[158:159], a[30:31], v[12:15]// 000000005180: D3F3000C 1C323D9E
	buffer_load_dword v71, s[20:23], 0 offen lds               // 000000005188: E0511000 80050047
	s_add_u32 m0, 0xa00, s49                                   // 000000005190: 807C31FF 00000A00
	v_fma_f32 v92, v8, v6, v92                                 // 000000005198: D1CB005C 05720D08
	v_fma_f32 v93, v9, v6, v93                                 // 0000000051A0: D1CB005D 05760D09
	v_fma_f32 v94, v10, v6, v94                                // 0000000051A8: D1CB005E 057A0D0A
	v_fma_f32 v95, v11, v6, v95                                // 0000000051B0: D1CB005F 057E0D0B
	v_mul_f32_dpp v4, v26, v58 row_newbcast:0 row_mask:0xf bank_mask:0xf// 0000000051B8: 0A0874FA FF01501A
	v_mfma_f32_16x16x32_fp8_fp8 v[8:11], a[144:145], a[32:33], 0// 0000000051C0: D3F30008 1A024190
	v_mfma_f32_16x16x32_fp8_fp8 v[8:11], a[146:147], a[34:35], v[8:11]// 0000000051C8: D3F30008 1C224592
	buffer_load_dword v72, s[20:23], 0 offen lds               // 0000000051D0: E0511000 80050048
	s_add_u32 m0, 0xb00, s49                                   // 0000000051D8: 807C31FF 00000B00
	v_mfma_f32_16x16x32_fp8_fp8 v[8:11], a[148:149], a[36:37], v[8:11]// 0000000051E0: D3F30008 1C224994
	v_mfma_f32_16x16x32_fp8_fp8 v[8:11], a[150:151], a[38:39], v[8:11]// 0000000051E8: D3F30008 1C224D96
	buffer_load_dword v73, s[20:23], 0 offen lds               // 0000000051F0: E0511000 80050049
	s_add_u32 m0, 0xc00, s49                                   // 0000000051F8: 807C31FF 00000C00
	v_fma_f32 v124, v12, v6, v124                              // 000000005200: D1CB007C 05F20D0C
	v_fma_f32 v125, v13, v6, v125                              // 000000005208: D1CB007D 05F60D0D
	v_fma_f32 v126, v14, v6, v126                              // 000000005210: D1CB007E 05FA0D0E
	v_fma_f32 v127, v15, v6, v127                              // 000000005218: D1CB007F 05FE0D0F
	v_mfma_f32_16x16x32_fp8_fp8 v[12:15], a[152:153], a[32:33], 0// 000000005220: D3F3000C 1A024198
	v_mfma_f32_16x16x32_fp8_fp8 v[12:15], a[154:155], a[34:35], v[12:15]// 000000005228: D3F3000C 1C32459A
	buffer_load_dword v74, s[20:23], 0 offen lds               // 000000005230: E0511000 8005004A
	s_add_u32 m0, 0xd00, s49                                   // 000000005238: 807C31FF 00000D00
	v_mfma_f32_16x16x32_fp8_fp8 v[12:15], a[156:157], a[36:37], v[12:15]// 000000005240: D3F3000C 1C32499C
	v_mfma_f32_16x16x32_fp8_fp8 v[12:15], a[158:159], a[38:39], v[12:15]// 000000005248: D3F3000C 1C324D9E
	buffer_load_dword v75, s[20:23], 0 offen lds               // 000000005250: E0511000 8005004B
	s_add_u32 m0, 0xe00, s49                                   // 000000005258: 807C31FF 00000E00
	v_fma_f32 v96, v8, v4, v96                                 // 000000005260: D1CB0060 05820908
	v_fma_f32 v97, v9, v4, v97                                 // 000000005268: D1CB0061 05860909
	v_fma_f32 v98, v10, v4, v98                                // 000000005270: D1CB0062 058A090A
	v_fma_f32 v99, v11, v4, v99                                // 000000005278: D1CB0063 058E090B
	v_mul_f32_dpp v6, v26, v59 row_newbcast:0 row_mask:0xf bank_mask:0xf// 000000005280: 0A0C76FA FF01501A
	v_mfma_f32_16x16x32_fp8_fp8 v[8:11], a[144:145], a[40:41], 0// 000000005288: D3F30008 1A025190
	v_mfma_f32_16x16x32_fp8_fp8 v[8:11], a[146:147], a[42:43], v[8:11]// 000000005290: D3F30008 1C225592
	buffer_load_dword v76, s[20:23], 0 offen lds               // 000000005298: E0511000 8005004C
	s_add_u32 m0, 0xf00, s49                                   // 0000000052A0: 807C31FF 00000F00
	v_mfma_f32_16x16x32_fp8_fp8 v[8:11], a[148:149], a[44:45], v[8:11]// 0000000052A8: D3F30008 1C225994
	v_mfma_f32_16x16x32_fp8_fp8 v[8:11], a[150:151], a[46:47], v[8:11]// 0000000052B0: D3F30008 1C225D96
	buffer_load_dword v77, s[20:23], 0 offen lds               // 0000000052B8: E0511000 8005004D
	s_add_u32 m0, 0, s50                                       // 0000000052C0: 807C3280
	v_fma_f32 v128, v12, v4, v128                              // 0000000052C4: D1CB0080 0602090C
	v_fma_f32 v129, v13, v4, v129                              // 0000000052CC: D1CB0081 0606090D
	v_fma_f32 v130, v14, v4, v130                              // 0000000052D4: D1CB0082 060A090E
	v_fma_f32 v131, v15, v4, v131                              // 0000000052DC: D1CB0083 060E090F
	v_mfma_f32_16x16x32_fp8_fp8 v[12:15], a[152:153], a[40:41], 0// 0000000052E4: D3F3000C 1A025198
	v_mfma_f32_16x16x32_fp8_fp8 v[12:15], a[154:155], a[42:43], v[12:15]// 0000000052EC: D3F3000C 1C32559A
	buffer_load_dword v46, v30, s[28:31], 0 offen              // 0000000052F4: E0501000 80072E1E
	v_mfma_f32_16x16x32_fp8_fp8 v[12:15], a[156:157], a[44:45], v[12:15]// 0000000052FC: D3F3000C 1C32599C
	v_mfma_f32_16x16x32_fp8_fp8 v[12:15], a[158:159], a[46:47], v[12:15]// 000000005304: D3F3000C 1C325D9E
	buffer_load_dword v47, v31, s[28:31], 0 offen              // 00000000530C: E0501000 80072F1F
	v_fma_f32 v100, v8, v6, v100                               // 000000005314: D1CB0064 05920D08
	v_fma_f32 v101, v9, v6, v101                               // 00000000531C: D1CB0065 05960D09
	v_fma_f32 v102, v10, v6, v102                              // 000000005324: D1CB0066 059A0D0A
	v_fma_f32 v103, v11, v6, v103                              // 00000000532C: D1CB0067 059E0D0B
	v_mul_f32_dpp v4, v26, v60 row_newbcast:0 row_mask:0xf bank_mask:0xf// 000000005334: 0A0878FA FF01501A
	v_mfma_f32_16x16x32_fp8_fp8 v[8:11], a[144:145], a[48:49], 0// 00000000533C: D3F30008 1A026190
	v_mfma_f32_16x16x32_fp8_fp8 v[8:11], a[146:147], a[50:51], v[8:11]// 000000005344: D3F30008 1C226592
	buffer_load_dword v48, v32, s[28:31], 0 offen              // 00000000534C: E0501000 80073020
	v_mfma_f32_16x16x32_fp8_fp8 v[8:11], a[148:149], a[52:53], v[8:11]// 000000005354: D3F30008 1C226994
	v_mfma_f32_16x16x32_fp8_fp8 v[8:11], a[150:151], a[54:55], v[8:11]// 00000000535C: D3F30008 1C226D96
	buffer_load_dword v49, v33, s[28:31], 0 offen              // 000000005364: E0501000 80073121
	v_fma_f32 v132, v12, v6, v132                              // 00000000536C: D1CB0084 06120D0C
	v_fma_f32 v133, v13, v6, v133                              // 000000005374: D1CB0085 06160D0D
	v_fma_f32 v134, v14, v6, v134                              // 00000000537C: D1CB0086 061A0D0E
	v_fma_f32 v135, v15, v6, v135                              // 000000005384: D1CB0087 061E0D0F
	v_mfma_f32_16x16x32_fp8_fp8 v[12:15], a[152:153], a[48:49], 0// 00000000538C: D3F3000C 1A026198
	v_mfma_f32_16x16x32_fp8_fp8 v[12:15], a[154:155], a[50:51], v[12:15]// 000000005394: D3F3000C 1C32659A
	buffer_load_dword v50, v34, s[28:31], 0 offen              // 00000000539C: E0501000 80073222
	v_mfma_f32_16x16x32_fp8_fp8 v[12:15], a[156:157], a[52:53], v[12:15]// 0000000053A4: D3F3000C 1C32699C
	v_mfma_f32_16x16x32_fp8_fp8 v[12:15], a[158:159], a[54:55], v[12:15]// 0000000053AC: D3F3000C 1C326D9E
	buffer_load_dword v51, v35, s[28:31], 0 offen              // 0000000053B4: E0501000 80073323
	v_fma_f32 v104, v8, v4, v104                               // 0000000053BC: D1CB0068 05A20908
	v_fma_f32 v105, v9, v4, v105                               // 0000000053C4: D1CB0069 05A60909
	v_fma_f32 v106, v10, v4, v106                              // 0000000053CC: D1CB006A 05AA090A
	v_fma_f32 v107, v11, v4, v107                              // 0000000053D4: D1CB006B 05AE090B
	v_mul_f32_dpp v6, v26, v61 row_newbcast:0 row_mask:0xf bank_mask:0xf// 0000000053DC: 0A0C7AFA FF01501A
	v_mfma_f32_16x16x32_fp8_fp8 v[8:11], a[144:145], a[56:57], 0// 0000000053E4: D3F30008 1A027190
	v_mfma_f32_16x16x32_fp8_fp8 v[8:11], a[146:147], a[58:59], v[8:11]// 0000000053EC: D3F30008 1C227592
	buffer_load_dword v52, v36, s[28:31], 0 offen              // 0000000053F4: E0501000 80073424
	v_mfma_f32_16x16x32_fp8_fp8 v[8:11], a[148:149], a[60:61], v[8:11]// 0000000053FC: D3F30008 1C227994
	v_mfma_f32_16x16x32_fp8_fp8 v[8:11], a[150:151], a[62:63], v[8:11]// 000000005404: D3F30008 1C227D96
	buffer_load_dword v53, v37, s[28:31], 0 offen              // 00000000540C: E0501000 80073525
	v_fma_f32 v136, v12, v4, v136                              // 000000005414: D1CB0088 0622090C
	v_fma_f32 v137, v13, v4, v137                              // 00000000541C: D1CB0089 0626090D
	v_fma_f32 v138, v14, v4, v138                              // 000000005424: D1CB008A 062A090E
	v_fma_f32 v139, v15, v4, v139                              // 00000000542C: D1CB008B 062E090F
	v_mfma_f32_16x16x32_fp8_fp8 v[12:15], a[152:153], a[56:57], 0// 000000005434: D3F3000C 1A027198
	v_mfma_f32_16x16x32_fp8_fp8 v[12:15], a[154:155], a[58:59], v[12:15]// 00000000543C: D3F3000C 1C32759A
	v_mfma_f32_16x16x32_fp8_fp8 v[12:15], a[156:157], a[60:61], v[12:15]// 000000005444: D3F3000C 1C32799C
	v_mfma_f32_16x16x32_fp8_fp8 v[12:15], a[158:159], a[62:63], v[12:15]// 00000000544C: D3F3000C 1C327D9E
	v_fma_f32 v108, v8, v6, v108                               // 000000005454: D1CB006C 05B20D08
	v_fma_f32 v109, v9, v6, v109                               // 00000000545C: D1CB006D 05B60D09
	v_fma_f32 v110, v10, v6, v110                              // 000000005464: D1CB006E 05BA0D0A
	v_fma_f32 v111, v11, v6, v111                              // 00000000546C: D1CB006F 05BE0D0B
	v_fma_f32 v140, v12, v6, v140                              // 000000005474: D1CB008C 06320D0C
	v_fma_f32 v141, v13, v6, v141                              // 00000000547C: D1CB008D 06360D0D
	v_fma_f32 v142, v14, v6, v142                              // 000000005484: D1CB008E 063A0D0E
	v_fma_f32 v143, v15, v6, v143                              // 00000000548C: D1CB008F 063E0D0F
	s_waitcnt vmcnt(29)                                        // 000000005494: BF8C4F7D
	s_barrier                                                  // 000000005498: BF8A0000
	v_mul_f32_dpp v4, v29, v54 row_newbcast:0 row_mask:0xf bank_mask:0xf// 00000000549C: 0A086CFA FF01501D
	v_mfma_f32_16x16x32_fp8_fp8 v[8:11], a[160:161], a[0:1], 0 // 0000000054A4: D3F30008 1A0201A0
	buffer_load_dword v27, v23, s[32:35], 0 offen              // 0000000054AC: E0501000 80081B17
	v_mfma_f32_16x16x32_fp8_fp8 v[8:11], a[162:163], a[2:3], v[8:11]// 0000000054B4: D3F30008 1C2205A2
	buffer_load_dwordx4 a[144:147], v78, s[84:87], 0 offen     // 0000000054BC: E05C1000 8095904E
	v_mfma_f32_16x16x32_fp8_fp8 v[8:11], a[164:165], a[4:5], v[8:11]// 0000000054C4: D3F30008 1C2209A4
	v_mfma_f32_16x16x32_fp8_fp8 v[8:11], a[166:167], a[6:7], v[8:11]// 0000000054CC: D3F30008 1C220DA6
	ds_read_b128 a[64:67], v2                                  // 0000000054D4: DBFE0000 40000002
	ds_read_b128 a[68:71], v2 offset:64                        // 0000000054DC: DBFE0040 44000002
	v_mfma_f32_16x16x32_fp8_fp8 v[12:15], a[168:169], a[0:1], 0// 0000000054E4: D3F3000C 1A0201A8
	v_mfma_f32_16x16x32_fp8_fp8 v[12:15], a[170:171], a[2:3], v[12:15]// 0000000054EC: D3F3000C 1C3205AA
	buffer_load_dwordx4 a[148:151], v78, s[84:87], 0 offen offset:1024// 0000000054F4: E05C1400 8095944E
	v_mfma_f32_16x16x32_fp8_fp8 v[12:15], a[172:173], a[4:5], v[12:15]// 0000000054FC: D3F3000C 1C3209AC
	v_mfma_f32_16x16x32_fp8_fp8 v[12:15], a[174:175], a[6:7], v[12:15]// 000000005504: D3F3000C 1C320DAE
	ds_read_b128 a[72:75], v2 offset:512                       // 00000000550C: DBFE0200 48000002
	ds_read_b128 a[76:79], v2 offset:576                       // 000000005514: DBFE0240 4C000002
	v_fma_f32 v144, v8, v4, v144                               // 00000000551C: D1CB0090 06420908
	v_fma_f32 v145, v9, v4, v145                               // 000000005524: D1CB0091 06460909
	v_fma_f32 v146, v10, v4, v146                              // 00000000552C: D1CB0092 064A090A
	v_fma_f32 v147, v11, v4, v147                              // 000000005534: D1CB0093 064E090B
	v_mul_f32_dpp v6, v29, v55 row_newbcast:0 row_mask:0xf bank_mask:0xf// 00000000553C: 0A0C6EFA FF01501D
	v_mfma_f32_16x16x32_fp8_fp8 v[8:11], a[160:161], a[8:9], 0 // 000000005544: D3F30008 1A0211A0
	v_mfma_f32_16x16x32_fp8_fp8 v[8:11], a[162:163], a[10:11], v[8:11]// 00000000554C: D3F30008 1C2215A2
	buffer_load_dwordx4 a[152:155], v79, s[84:87], 0 offen     // 000000005554: E05C1000 8095984F
	v_mfma_f32_16x16x32_fp8_fp8 v[8:11], a[164:165], a[12:13], v[8:11]// 00000000555C: D3F30008 1C2219A4
	v_mfma_f32_16x16x32_fp8_fp8 v[8:11], a[166:167], a[14:15], v[8:11]// 000000005564: D3F30008 1C221DA6
	ds_read_b128 a[80:83], v2 offset:1024                      // 00000000556C: DBFE0400 50000002
	ds_read_b128 a[84:87], v2 offset:1088                      // 000000005574: DBFE0440 54000002
	v_fma_f32 v176, v12, v4, v176                              // 00000000557C: D1CB00B0 06C2090C
	v_fma_f32 v177, v13, v4, v177                              // 000000005584: D1CB00B1 06C6090D
	v_fma_f32 v178, v14, v4, v178                              // 00000000558C: D1CB00B2 06CA090E
	v_fma_f32 v179, v15, v4, v179                              // 000000005594: D1CB00B3 06CE090F
	v_mfma_f32_16x16x32_fp8_fp8 v[12:15], a[168:169], a[8:9], 0// 00000000559C: D3F3000C 1A0211A8
	v_mfma_f32_16x16x32_fp8_fp8 v[12:15], a[170:171], a[10:11], v[12:15]// 0000000055A4: D3F3000C 1C3215AA
	buffer_load_dwordx4 a[156:159], v79, s[84:87], 0 offen offset:1024// 0000000055AC: E05C1400 80959C4F
	v_mfma_f32_16x16x32_fp8_fp8 v[12:15], a[172:173], a[12:13], v[12:15]// 0000000055B4: D3F3000C 1C3219AC
	v_mfma_f32_16x16x32_fp8_fp8 v[12:15], a[174:175], a[14:15], v[12:15]// 0000000055BC: D3F3000C 1C321DAE
	ds_read_b128 a[88:91], v2 offset:1536                      // 0000000055C4: DBFE0600 58000002
	ds_read_b128 a[92:95], v2 offset:1600                      // 0000000055CC: DBFE0640 5C000002
	v_fma_f32 v148, v8, v6, v148                               // 0000000055D4: D1CB0094 06520D08
	v_fma_f32 v149, v9, v6, v149                               // 0000000055DC: D1CB0095 06560D09
	v_fma_f32 v150, v10, v6, v150                              // 0000000055E4: D1CB0096 065A0D0A
	v_fma_f32 v151, v11, v6, v151                              // 0000000055EC: D1CB0097 065E0D0B
	v_mul_f32_dpp v4, v29, v56 row_newbcast:0 row_mask:0xf bank_mask:0xf// 0000000055F4: 0A0870FA FF01501D
	v_mfma_f32_16x16x32_fp8_fp8 v[8:11], a[160:161], a[16:17], 0// 0000000055FC: D3F30008 1A0221A0
	v_mfma_f32_16x16x32_fp8_fp8 v[8:11], a[162:163], a[18:19], v[8:11]// 000000005604: D3F30008 1C2225A2
	v_mfma_f32_16x16x32_fp8_fp8 v[8:11], a[164:165], a[20:21], v[8:11]// 00000000560C: D3F30008 1C2229A4
	v_mfma_f32_16x16x32_fp8_fp8 v[8:11], a[166:167], a[22:23], v[8:11]// 000000005614: D3F30008 1C222DA6
	ds_read_b128 a[96:99], v2 offset:2048                      // 00000000561C: DBFE0800 60000002
	ds_read_b128 a[100:103], v2 offset:2112                    // 000000005624: DBFE0840 64000002
	v_fma_f32 v180, v12, v6, v180                              // 00000000562C: D1CB00B4 06D20D0C
	v_fma_f32 v181, v13, v6, v181                              // 000000005634: D1CB00B5 06D60D0D
	v_fma_f32 v182, v14, v6, v182                              // 00000000563C: D1CB00B6 06DA0D0E
	v_fma_f32 v183, v15, v6, v183                              // 000000005644: D1CB00B7 06DE0D0F
	v_mfma_f32_16x16x32_fp8_fp8 v[12:15], a[168:169], a[16:17], 0// 00000000564C: D3F3000C 1A0221A8
	v_mfma_f32_16x16x32_fp8_fp8 v[12:15], a[170:171], a[18:19], v[12:15]// 000000005654: D3F3000C 1C3225AA
	v_mfma_f32_16x16x32_fp8_fp8 v[12:15], a[172:173], a[20:21], v[12:15]// 00000000565C: D3F3000C 1C3229AC
	v_mfma_f32_16x16x32_fp8_fp8 v[12:15], a[174:175], a[22:23], v[12:15]// 000000005664: D3F3000C 1C322DAE
	ds_read_b128 a[104:107], v2 offset:2560                    // 00000000566C: DBFE0A00 68000002
	ds_read_b128 a[108:111], v2 offset:2624                    // 000000005674: DBFE0A40 6C000002
	v_fma_f32 v152, v8, v4, v152                               // 00000000567C: D1CB0098 06620908
	v_fma_f32 v153, v9, v4, v153                               // 000000005684: D1CB0099 06660909
	v_fma_f32 v154, v10, v4, v154                              // 00000000568C: D1CB009A 066A090A
	v_fma_f32 v155, v11, v4, v155                              // 000000005694: D1CB009B 066E090B
	v_mul_f32_dpp v6, v29, v57 row_newbcast:0 row_mask:0xf bank_mask:0xf// 00000000569C: 0A0C72FA FF01501D
	v_mfma_f32_16x16x32_fp8_fp8 v[8:11], a[160:161], a[24:25], 0// 0000000056A4: D3F30008 1A0231A0
	v_mfma_f32_16x16x32_fp8_fp8 v[8:11], a[162:163], a[26:27], v[8:11]// 0000000056AC: D3F30008 1C2235A2
	v_mfma_f32_16x16x32_fp8_fp8 v[8:11], a[164:165], a[28:29], v[8:11]// 0000000056B4: D3F30008 1C2239A4
	v_mfma_f32_16x16x32_fp8_fp8 v[8:11], a[166:167], a[30:31], v[8:11]// 0000000056BC: D3F30008 1C223DA6
	ds_read_b128 a[112:115], v2 offset:3072                    // 0000000056C4: DBFE0C00 70000002
	ds_read_b128 a[116:119], v2 offset:3136                    // 0000000056CC: DBFE0C40 74000002
	v_fma_f32 v184, v12, v4, v184                              // 0000000056D4: D1CB00B8 06E2090C
	v_fma_f32 v185, v13, v4, v185                              // 0000000056DC: D1CB00B9 06E6090D
	v_fma_f32 v186, v14, v4, v186                              // 0000000056E4: D1CB00BA 06EA090E
	v_fma_f32 v187, v15, v4, v187                              // 0000000056EC: D1CB00BB 06EE090F
	v_mfma_f32_16x16x32_fp8_fp8 v[12:15], a[168:169], a[24:25], 0// 0000000056F4: D3F3000C 1A0231A8
	v_mfma_f32_16x16x32_fp8_fp8 v[12:15], a[170:171], a[26:27], v[12:15]// 0000000056FC: D3F3000C 1C3235AA
	v_mfma_f32_16x16x32_fp8_fp8 v[12:15], a[172:173], a[28:29], v[12:15]// 000000005704: D3F3000C 1C3239AC
	v_mfma_f32_16x16x32_fp8_fp8 v[12:15], a[174:175], a[30:31], v[12:15]// 00000000570C: D3F3000C 1C323DAE
	ds_read_b128 a[120:123], v2 offset:3584                    // 000000005714: DBFE0E00 78000002
	ds_read_b128 a[124:127], v2 offset:3648                    // 00000000571C: DBFE0E40 7C000002
	v_fma_f32 v156, v8, v6, v156                               // 000000005724: D1CB009C 06720D08
	v_fma_f32 v157, v9, v6, v157                               // 00000000572C: D1CB009D 06760D09
	v_fma_f32 v158, v10, v6, v158                              // 000000005734: D1CB009E 067A0D0A
	v_fma_f32 v159, v11, v6, v159                              // 00000000573C: D1CB009F 067E0D0B
	v_mul_f32_dpp v4, v29, v58 row_newbcast:0 row_mask:0xf bank_mask:0xf// 000000005744: 0A0874FA FF01501D
	v_mfma_f32_16x16x32_fp8_fp8 v[8:11], a[160:161], a[32:33], 0// 00000000574C: D3F30008 1A0241A0
	v_mfma_f32_16x16x32_fp8_fp8 v[8:11], a[162:163], a[34:35], v[8:11]// 000000005754: D3F30008 1C2245A2
	v_mfma_f32_16x16x32_fp8_fp8 v[8:11], a[164:165], a[36:37], v[8:11]// 00000000575C: D3F30008 1C2249A4
	v_mfma_f32_16x16x32_fp8_fp8 v[8:11], a[166:167], a[38:39], v[8:11]// 000000005764: D3F30008 1C224DA6
	v_fma_f32 v188, v12, v6, v188                              // 00000000576C: D1CB00BC 06F20D0C
	v_fma_f32 v189, v13, v6, v189                              // 000000005774: D1CB00BD 06F60D0D
	v_fma_f32 v190, v14, v6, v190                              // 00000000577C: D1CB00BE 06FA0D0E
	v_fma_f32 v191, v15, v6, v191                              // 000000005784: D1CB00BF 06FE0D0F
	v_mfma_f32_16x16x32_fp8_fp8 v[12:15], a[168:169], a[32:33], 0// 00000000578C: D3F3000C 1A0241A8
	v_mfma_f32_16x16x32_fp8_fp8 v[12:15], a[170:171], a[34:35], v[12:15]// 000000005794: D3F3000C 1C3245AA
	v_mfma_f32_16x16x32_fp8_fp8 v[12:15], a[172:173], a[36:37], v[12:15]// 00000000579C: D3F3000C 1C3249AC
	v_mfma_f32_16x16x32_fp8_fp8 v[12:15], a[174:175], a[38:39], v[12:15]// 0000000057A4: D3F3000C 1C324DAE
	v_fma_f32 v160, v8, v4, v160                               // 0000000057AC: D1CB00A0 06820908
	v_fma_f32 v161, v9, v4, v161                               // 0000000057B4: D1CB00A1 06860909
	v_fma_f32 v162, v10, v4, v162                              // 0000000057BC: D1CB00A2 068A090A
	v_fma_f32 v163, v11, v4, v163                              // 0000000057C4: D1CB00A3 068E090B
	v_mul_f32_dpp v6, v29, v59 row_newbcast:0 row_mask:0xf bank_mask:0xf// 0000000057CC: 0A0C76FA FF01501D
	v_mfma_f32_16x16x32_fp8_fp8 v[8:11], a[160:161], a[40:41], 0// 0000000057D4: D3F30008 1A0251A0
	v_mfma_f32_16x16x32_fp8_fp8 v[8:11], a[162:163], a[42:43], v[8:11]// 0000000057DC: D3F30008 1C2255A2
	v_mfma_f32_16x16x32_fp8_fp8 v[8:11], a[164:165], a[44:45], v[8:11]// 0000000057E4: D3F30008 1C2259A4
	v_mfma_f32_16x16x32_fp8_fp8 v[8:11], a[166:167], a[46:47], v[8:11]// 0000000057EC: D3F30008 1C225DA6
	v_fma_f32 v192, v12, v4, v192                              // 0000000057F4: D1CB00C0 0702090C
	v_fma_f32 v193, v13, v4, v193                              // 0000000057FC: D1CB00C1 0706090D
	v_fma_f32 v194, v14, v4, v194                              // 000000005804: D1CB00C2 070A090E
	v_fma_f32 v195, v15, v4, v195                              // 00000000580C: D1CB00C3 070E090F
	v_mfma_f32_16x16x32_fp8_fp8 v[12:15], a[168:169], a[40:41], 0// 000000005814: D3F3000C 1A0251A8
	v_mfma_f32_16x16x32_fp8_fp8 v[12:15], a[170:171], a[42:43], v[12:15]// 00000000581C: D3F3000C 1C3255AA
	v_mfma_f32_16x16x32_fp8_fp8 v[12:15], a[172:173], a[44:45], v[12:15]// 000000005824: D3F3000C 1C3259AC
	v_mfma_f32_16x16x32_fp8_fp8 v[12:15], a[174:175], a[46:47], v[12:15]// 00000000582C: D3F3000C 1C325DAE
	v_fma_f32 v164, v8, v6, v164                               // 000000005834: D1CB00A4 06920D08
	v_fma_f32 v165, v9, v6, v165                               // 00000000583C: D1CB00A5 06960D09
	v_fma_f32 v166, v10, v6, v166                              // 000000005844: D1CB00A6 069A0D0A
	v_fma_f32 v167, v11, v6, v167                              // 00000000584C: D1CB00A7 069E0D0B
	v_mul_f32_dpp v4, v29, v60 row_newbcast:0 row_mask:0xf bank_mask:0xf// 000000005854: 0A0878FA FF01501D
	v_mfma_f32_16x16x32_fp8_fp8 v[8:11], a[160:161], a[48:49], 0// 00000000585C: D3F30008 1A0261A0
	v_mfma_f32_16x16x32_fp8_fp8 v[8:11], a[162:163], a[50:51], v[8:11]// 000000005864: D3F30008 1C2265A2
	v_mfma_f32_16x16x32_fp8_fp8 v[8:11], a[164:165], a[52:53], v[8:11]// 00000000586C: D3F30008 1C2269A4
	v_mfma_f32_16x16x32_fp8_fp8 v[8:11], a[166:167], a[54:55], v[8:11]// 000000005874: D3F30008 1C226DA6
	v_fma_f32 v196, v12, v6, v196                              // 00000000587C: D1CB00C4 07120D0C
	v_fma_f32 v197, v13, v6, v197                              // 000000005884: D1CB00C5 07160D0D
	v_fma_f32 v198, v14, v6, v198                              // 00000000588C: D1CB00C6 071A0D0E
	v_fma_f32 v199, v15, v6, v199                              // 000000005894: D1CB00C7 071E0D0F
	v_mfma_f32_16x16x32_fp8_fp8 v[12:15], a[168:169], a[48:49], 0// 00000000589C: D3F3000C 1A0261A8
	v_mfma_f32_16x16x32_fp8_fp8 v[12:15], a[170:171], a[50:51], v[12:15]// 0000000058A4: D3F3000C 1C3265AA
	v_mfma_f32_16x16x32_fp8_fp8 v[12:15], a[172:173], a[52:53], v[12:15]// 0000000058AC: D3F3000C 1C3269AC
	v_mfma_f32_16x16x32_fp8_fp8 v[12:15], a[174:175], a[54:55], v[12:15]// 0000000058B4: D3F3000C 1C326DAE
	v_fma_f32 v168, v8, v4, v168                               // 0000000058BC: D1CB00A8 06A20908
	v_fma_f32 v169, v9, v4, v169                               // 0000000058C4: D1CB00A9 06A60909
	v_fma_f32 v170, v10, v4, v170                              // 0000000058CC: D1CB00AA 06AA090A
	v_fma_f32 v171, v11, v4, v171                              // 0000000058D4: D1CB00AB 06AE090B
	v_mul_f32_dpp v6, v29, v61 row_newbcast:0 row_mask:0xf bank_mask:0xf// 0000000058DC: 0A0C7AFA FF01501D
	v_mfma_f32_16x16x32_fp8_fp8 v[8:11], a[160:161], a[56:57], 0// 0000000058E4: D3F30008 1A0271A0
	s_add_u32 s60, 0x180, s80                                  // 0000000058EC: 803C50FF 00000180
	s_cmp_lt_u32 s60, s81                                      // 0000000058F4: BF0A513C
	s_cselect_b32 s57, s57, 0                                  // 0000000058F8: 85398039
	s_cselect_b32 s3, s3, 0                                    // 0000000058FC: 85038003
	v_mfma_f32_16x16x32_fp8_fp8 v[8:11], a[162:163], a[58:59], v[8:11]// 000000005900: D3F30008 1C2275A2
	s_add_u32 s60, 0x100, s80                                  // 000000005908: 803C50FF 00000100
	s_cmp_lt_u32 s60, s81                                      // 000000005910: BF0A513C
	s_cselect_b32 s58, s58, 0                                  // 000000005914: 853A803A
	v_mfma_f32_16x16x32_fp8_fp8 v[8:11], a[164:165], a[60:61], v[8:11]// 000000005918: D3F30008 1C2279A4
	s_add_u32 s60, 0x100, s80                                  // 000000005920: 803C50FF 00000100
	s_cmp_lt_u32 s60, s81                                      // 000000005928: BF0A513C
	s_cselect_b32 s83, s83, 0                                  // 00000000592C: 85538053
	s_cselect_b32 s4, s4, 0                                    // 000000005930: 85048004
	v_mfma_f32_16x16x32_fp8_fp8 v[8:11], a[166:167], a[62:63], v[8:11]// 000000005934: D3F30008 1C227DA6
	s_add_u32 s24, s58, s24                                    // 00000000593C: 8018183A
	s_addc_u32 s25, 0, s25                                     // 000000005940: 82191980
	v_fma_f32 v200, v12, v4, v200                              // 000000005944: D1CB00C8 0722090C
	v_fma_f32 v201, v13, v4, v201                              // 00000000594C: D1CB00C9 0726090D
	v_fma_f32 v202, v14, v4, v202                              // 000000005954: D1CB00CA 072A090E
	v_fma_f32 v203, v15, v4, v203                              // 00000000595C: D1CB00CB 072E090F
	v_mfma_f32_16x16x32_fp8_fp8 v[12:15], a[168:169], a[56:57], 0// 000000005964: D3F3000C 1A0271A8
	s_add_u32 s20, s57, s20                                    // 00000000596C: 80141439
	s_addc_u32 s21, 0, s21                                     // 000000005970: 82151580
	s_add_u32 s28, s3, s28                                     // 000000005974: 801C1C03
	s_addc_u32 s29, 0, s29                                     // 000000005978: 821D1D80
	v_mfma_f32_16x16x32_fp8_fp8 v[12:15], a[170:171], a[58:59], v[12:15]// 00000000597C: D3F3000C 1C3275AA
	s_add_u32 s84, s83, s84                                    // 000000005984: 80545453
	s_addc_u32 s85, 0, s85                                     // 000000005988: 82555580
	v_mfma_f32_16x16x32_fp8_fp8 v[12:15], a[172:173], a[60:61], v[12:15]// 00000000598C: D3F3000C 1C3279AC
	s_add_u32 s32, s4, s32                                     // 000000005994: 80202004
	s_addc_u32 s33, 0, s33                                     // 000000005998: 82212180
	v_mfma_f32_16x16x32_fp8_fp8 v[12:15], a[174:175], a[62:63], v[12:15]// 00000000599C: D3F3000C 1C327DAE
	v_fma_f32 v172, v8, v6, v172                               // 0000000059A4: D1CB00AC 06B20D08
	v_fma_f32 v173, v9, v6, v173                               // 0000000059AC: D1CB00AD 06B60D09
	v_fma_f32 v174, v10, v6, v174                              // 0000000059B4: D1CB00AE 06BA0D0A
	v_fma_f32 v175, v11, v6, v175                              // 0000000059BC: D1CB00AF 06BE0D0B
	v_fma_f32 v204, v12, v6, v204                              // 0000000059C4: D1CB00CC 07320D0C
	v_fma_f32 v205, v13, v6, v205                              // 0000000059CC: D1CB00CD 07360D0D
	v_fma_f32 v206, v14, v6, v206                              // 0000000059D4: D1CB00CE 073A0D0E
	v_fma_f32 v207, v15, v6, v207                              // 0000000059DC: D1CB00CF 073E0D0F
	s_addk_i32 s80, 0x80                                       // 0000000059E4: B7500080
	s_cmp_lt_i32 s80, s81                                      // 0000000059E8: BF045150
	s_cbranch_scc0 label_1440                                  // 0000000059EC: BF840844
	s_waitcnt vmcnt(29) lgkmcnt(0)                             // 0000000059F0: BF8C407D
	v_mul_f32_dpp v4, v24, v38 row_newbcast:0 row_mask:0xf bank_mask:0xf// 0000000059F4: 0A084CFA FF015018
	v_mfma_f32_16x16x32_fp8_fp8 v[8:11], a[128:129], a[64:65], 0// 0000000059FC: D3F30008 1A028180
	buffer_load_dword v25, v22, s[32:35], 0 offen              // 000000005A04: E0501000 80081916
	v_mfma_f32_16x16x32_fp8_fp8 v[8:11], a[130:131], a[66:67], v[8:11]// 000000005A0C: D3F30008 1C228582
	buffer_load_dwordx4 a[160:163], v78, s[24:27], 0 offen     // 000000005A14: E05C1000 8086A04E
	v_mfma_f32_16x16x32_fp8_fp8 v[8:11], a[132:133], a[68:69], v[8:11]// 000000005A1C: D3F30008 1C228984
	v_mfma_f32_16x16x32_fp8_fp8 v[8:11], a[134:135], a[70:71], v[8:11]// 000000005A24: D3F30008 1C228D86
	v_mfma_f32_16x16x32_fp8_fp8 v[12:15], a[136:137], a[64:65], 0// 000000005A2C: D3F3000C 1A028188
	v_mfma_f32_16x16x32_fp8_fp8 v[12:15], a[138:139], a[66:67], v[12:15]// 000000005A34: D3F3000C 1C32858A
	buffer_load_dwordx4 a[164:167], v78, s[24:27], 0 offen offset:1024// 000000005A3C: E05C1400 8086A44E
	v_mfma_f32_16x16x32_fp8_fp8 v[12:15], a[140:141], a[68:69], v[12:15]// 000000005A44: D3F3000C 1C32898C
	v_mfma_f32_16x16x32_fp8_fp8 v[12:15], a[142:143], a[70:71], v[12:15]// 000000005A4C: D3F3000C 1C328D8E
	v_fma_f32 v80, v8, v4, v80                                 // 000000005A54: D1CB0050 05420908
	v_fma_f32 v81, v9, v4, v81                                 // 000000005A5C: D1CB0051 05460909
	v_fma_f32 v82, v10, v4, v82                                // 000000005A64: D1CB0052 054A090A
	v_fma_f32 v83, v11, v4, v83                                // 000000005A6C: D1CB0053 054E090B
	v_mul_f32_dpp v6, v24, v39 row_newbcast:0 row_mask:0xf bank_mask:0xf// 000000005A74: 0A0C4EFA FF015018
	v_mfma_f32_16x16x32_fp8_fp8 v[8:11], a[128:129], a[72:73], 0// 000000005A7C: D3F30008 1A029180
	v_mfma_f32_16x16x32_fp8_fp8 v[8:11], a[130:131], a[74:75], v[8:11]// 000000005A84: D3F30008 1C229582
	buffer_load_dwordx4 a[168:171], v79, s[24:27], 0 offen     // 000000005A8C: E05C1000 8086A84F
	v_mfma_f32_16x16x32_fp8_fp8 v[8:11], a[132:133], a[76:77], v[8:11]// 000000005A94: D3F30008 1C229984
	v_mfma_f32_16x16x32_fp8_fp8 v[8:11], a[134:135], a[78:79], v[8:11]// 000000005A9C: D3F30008 1C229D86
	v_fma_f32 v112, v12, v4, v112                              // 000000005AA4: D1CB0070 05C2090C
	v_fma_f32 v113, v13, v4, v113                              // 000000005AAC: D1CB0071 05C6090D
	v_fma_f32 v114, v14, v4, v114                              // 000000005AB4: D1CB0072 05CA090E
	v_fma_f32 v115, v15, v4, v115                              // 000000005ABC: D1CB0073 05CE090F
	v_mfma_f32_16x16x32_fp8_fp8 v[12:15], a[136:137], a[72:73], 0// 000000005AC4: D3F3000C 1A029188
	v_mfma_f32_16x16x32_fp8_fp8 v[12:15], a[138:139], a[74:75], v[12:15]// 000000005ACC: D3F3000C 1C32958A
	buffer_load_dwordx4 a[172:175], v79, s[24:27], 0 offen offset:1024// 000000005AD4: E05C1400 8086AC4F
	buffer_load_dword v62, s[20:23], 0 offen lds               // 000000005ADC: E0511000 8005003E
	s_add_u32 m0, 0x100, s50                                   // 000000005AE4: 807C32FF 00000100
	v_mfma_f32_16x16x32_fp8_fp8 v[12:15], a[140:141], a[76:77], v[12:15]// 000000005AEC: D3F3000C 1C32998C
	v_mfma_f32_16x16x32_fp8_fp8 v[12:15], a[142:143], a[78:79], v[12:15]// 000000005AF4: D3F3000C 1C329D8E
	buffer_load_dword v63, s[20:23], 0 offen lds               // 000000005AFC: E0511000 8005003F
	s_add_u32 m0, 0x200, s50                                   // 000000005B04: 807C32FF 00000200
	v_fma_f32 v84, v8, v6, v84                                 // 000000005B0C: D1CB0054 05520D08
	v_fma_f32 v85, v9, v6, v85                                 // 000000005B14: D1CB0055 05560D09
	v_fma_f32 v86, v10, v6, v86                                // 000000005B1C: D1CB0056 055A0D0A
	v_fma_f32 v87, v11, v6, v87                                // 000000005B24: D1CB0057 055E0D0B
	v_mul_f32_dpp v4, v24, v40 row_newbcast:0 row_mask:0xf bank_mask:0xf// 000000005B2C: 0A0850FA FF015018
	v_mfma_f32_16x16x32_fp8_fp8 v[8:11], a[128:129], a[80:81], 0// 000000005B34: D3F30008 1A02A180
	v_mfma_f32_16x16x32_fp8_fp8 v[8:11], a[130:131], a[82:83], v[8:11]// 000000005B3C: D3F30008 1C22A582
	buffer_load_dword v64, s[20:23], 0 offen lds               // 000000005B44: E0511000 80050040
	s_add_u32 m0, 0x300, s50                                   // 000000005B4C: 807C32FF 00000300
	v_mfma_f32_16x16x32_fp8_fp8 v[8:11], a[132:133], a[84:85], v[8:11]// 000000005B54: D3F30008 1C22A984
	v_mfma_f32_16x16x32_fp8_fp8 v[8:11], a[134:135], a[86:87], v[8:11]// 000000005B5C: D3F30008 1C22AD86
	buffer_load_dword v65, s[20:23], 0 offen lds               // 000000005B64: E0511000 80050041
	s_add_u32 m0, 0x400, s50                                   // 000000005B6C: 807C32FF 00000400
	v_fma_f32 v116, v12, v6, v116                              // 000000005B74: D1CB0074 05D20D0C
	v_fma_f32 v117, v13, v6, v117                              // 000000005B7C: D1CB0075 05D60D0D
	v_fma_f32 v118, v14, v6, v118                              // 000000005B84: D1CB0076 05DA0D0E
	v_fma_f32 v119, v15, v6, v119                              // 000000005B8C: D1CB0077 05DE0D0F
	v_mfma_f32_16x16x32_fp8_fp8 v[12:15], a[136:137], a[80:81], 0// 000000005B94: D3F3000C 1A02A188
	v_mfma_f32_16x16x32_fp8_fp8 v[12:15], a[138:139], a[82:83], v[12:15]// 000000005B9C: D3F3000C 1C32A58A
	buffer_load_dword v66, s[20:23], 0 offen lds               // 000000005BA4: E0511000 80050042
	s_add_u32 m0, 0x500, s50                                   // 000000005BAC: 807C32FF 00000500
	v_mfma_f32_16x16x32_fp8_fp8 v[12:15], a[140:141], a[84:85], v[12:15]// 000000005BB4: D3F3000C 1C32A98C
	v_mfma_f32_16x16x32_fp8_fp8 v[12:15], a[142:143], a[86:87], v[12:15]// 000000005BBC: D3F3000C 1C32AD8E
	buffer_load_dword v67, s[20:23], 0 offen lds               // 000000005BC4: E0511000 80050043
	s_add_u32 m0, 0x600, s50                                   // 000000005BCC: 807C32FF 00000600
	v_fma_f32 v88, v8, v4, v88                                 // 000000005BD4: D1CB0058 05620908
	v_fma_f32 v89, v9, v4, v89                                 // 000000005BDC: D1CB0059 05660909
	v_fma_f32 v90, v10, v4, v90                                // 000000005BE4: D1CB005A 056A090A
	v_fma_f32 v91, v11, v4, v91                                // 000000005BEC: D1CB005B 056E090B
	v_mul_f32_dpp v6, v24, v41 row_newbcast:0 row_mask:0xf bank_mask:0xf// 000000005BF4: 0A0C52FA FF015018
	v_mfma_f32_16x16x32_fp8_fp8 v[8:11], a[128:129], a[88:89], 0// 000000005BFC: D3F30008 1A02B180
	v_mfma_f32_16x16x32_fp8_fp8 v[8:11], a[130:131], a[90:91], v[8:11]// 000000005C04: D3F30008 1C22B582
	buffer_load_dword v68, s[20:23], 0 offen lds               // 000000005C0C: E0511000 80050044
	s_add_u32 m0, 0x700, s50                                   // 000000005C14: 807C32FF 00000700
	v_mfma_f32_16x16x32_fp8_fp8 v[8:11], a[132:133], a[92:93], v[8:11]// 000000005C1C: D3F30008 1C22B984
	v_mfma_f32_16x16x32_fp8_fp8 v[8:11], a[134:135], a[94:95], v[8:11]// 000000005C24: D3F30008 1C22BD86
	buffer_load_dword v69, s[20:23], 0 offen lds               // 000000005C2C: E0511000 80050045
	s_add_u32 m0, 0x800, s50                                   // 000000005C34: 807C32FF 00000800
	v_fma_f32 v120, v12, v4, v120                              // 000000005C3C: D1CB0078 05E2090C
	v_fma_f32 v121, v13, v4, v121                              // 000000005C44: D1CB0079 05E6090D
	v_fma_f32 v122, v14, v4, v122                              // 000000005C4C: D1CB007A 05EA090E
	v_fma_f32 v123, v15, v4, v123                              // 000000005C54: D1CB007B 05EE090F
	v_mfma_f32_16x16x32_fp8_fp8 v[12:15], a[136:137], a[88:89], 0// 000000005C5C: D3F3000C 1A02B188
	v_mfma_f32_16x16x32_fp8_fp8 v[12:15], a[138:139], a[90:91], v[12:15]// 000000005C64: D3F3000C 1C32B58A
	buffer_load_dword v70, s[20:23], 0 offen lds               // 000000005C6C: E0511000 80050046
	s_add_u32 m0, 0x900, s50                                   // 000000005C74: 807C32FF 00000900
	v_mfma_f32_16x16x32_fp8_fp8 v[12:15], a[140:141], a[92:93], v[12:15]// 000000005C7C: D3F3000C 1C32B98C
	v_mfma_f32_16x16x32_fp8_fp8 v[12:15], a[142:143], a[94:95], v[12:15]// 000000005C84: D3F3000C 1C32BD8E
	buffer_load_dword v71, s[20:23], 0 offen lds               // 000000005C8C: E0511000 80050047
	s_add_u32 m0, 0xa00, s50                                   // 000000005C94: 807C32FF 00000A00
	v_fma_f32 v92, v8, v6, v92                                 // 000000005C9C: D1CB005C 05720D08
	v_fma_f32 v93, v9, v6, v93                                 // 000000005CA4: D1CB005D 05760D09
	v_fma_f32 v94, v10, v6, v94                                // 000000005CAC: D1CB005E 057A0D0A
	v_fma_f32 v95, v11, v6, v95                                // 000000005CB4: D1CB005F 057E0D0B
	v_mul_f32_dpp v4, v24, v42 row_newbcast:0 row_mask:0xf bank_mask:0xf// 000000005CBC: 0A0854FA FF015018
	v_mfma_f32_16x16x32_fp8_fp8 v[8:11], a[128:129], a[96:97], 0// 000000005CC4: D3F30008 1A02C180
	v_mfma_f32_16x16x32_fp8_fp8 v[8:11], a[130:131], a[98:99], v[8:11]// 000000005CCC: D3F30008 1C22C582
	buffer_load_dword v72, s[20:23], 0 offen lds               // 000000005CD4: E0511000 80050048
	s_add_u32 m0, 0xb00, s50                                   // 000000005CDC: 807C32FF 00000B00
	v_mfma_f32_16x16x32_fp8_fp8 v[8:11], a[132:133], a[100:101], v[8:11]// 000000005CE4: D3F30008 1C22C984
	v_mfma_f32_16x16x32_fp8_fp8 v[8:11], a[134:135], a[102:103], v[8:11]// 000000005CEC: D3F30008 1C22CD86
	buffer_load_dword v73, s[20:23], 0 offen lds               // 000000005CF4: E0511000 80050049
	s_add_u32 m0, 0xc00, s50                                   // 000000005CFC: 807C32FF 00000C00
	v_fma_f32 v124, v12, v6, v124                              // 000000005D04: D1CB007C 05F20D0C
	v_fma_f32 v125, v13, v6, v125                              // 000000005D0C: D1CB007D 05F60D0D
	v_fma_f32 v126, v14, v6, v126                              // 000000005D14: D1CB007E 05FA0D0E
	v_fma_f32 v127, v15, v6, v127                              // 000000005D1C: D1CB007F 05FE0D0F
	v_mfma_f32_16x16x32_fp8_fp8 v[12:15], a[136:137], a[96:97], 0// 000000005D24: D3F3000C 1A02C188
	v_mfma_f32_16x16x32_fp8_fp8 v[12:15], a[138:139], a[98:99], v[12:15]// 000000005D2C: D3F3000C 1C32C58A
	buffer_load_dword v74, s[20:23], 0 offen lds               // 000000005D34: E0511000 8005004A
	s_add_u32 m0, 0xd00, s50                                   // 000000005D3C: 807C32FF 00000D00
	v_mfma_f32_16x16x32_fp8_fp8 v[12:15], a[140:141], a[100:101], v[12:15]// 000000005D44: D3F3000C 1C32C98C
	v_mfma_f32_16x16x32_fp8_fp8 v[12:15], a[142:143], a[102:103], v[12:15]// 000000005D4C: D3F3000C 1C32CD8E
	buffer_load_dword v75, s[20:23], 0 offen lds               // 000000005D54: E0511000 8005004B
	s_add_u32 m0, 0xe00, s50                                   // 000000005D5C: 807C32FF 00000E00
	v_fma_f32 v96, v8, v4, v96                                 // 000000005D64: D1CB0060 05820908
	v_fma_f32 v97, v9, v4, v97                                 // 000000005D6C: D1CB0061 05860909
	v_fma_f32 v98, v10, v4, v98                                // 000000005D74: D1CB0062 058A090A
	v_fma_f32 v99, v11, v4, v99                                // 000000005D7C: D1CB0063 058E090B
	v_mul_f32_dpp v6, v24, v43 row_newbcast:0 row_mask:0xf bank_mask:0xf// 000000005D84: 0A0C56FA FF015018
	v_mfma_f32_16x16x32_fp8_fp8 v[8:11], a[128:129], a[104:105], 0// 000000005D8C: D3F30008 1A02D180
	v_mfma_f32_16x16x32_fp8_fp8 v[8:11], a[130:131], a[106:107], v[8:11]// 000000005D94: D3F30008 1C22D582
	buffer_load_dword v76, s[20:23], 0 offen lds               // 000000005D9C: E0511000 8005004C
	s_add_u32 m0, 0xf00, s50                                   // 000000005DA4: 807C32FF 00000F00
	v_mfma_f32_16x16x32_fp8_fp8 v[8:11], a[132:133], a[108:109], v[8:11]// 000000005DAC: D3F30008 1C22D984
	v_mfma_f32_16x16x32_fp8_fp8 v[8:11], a[134:135], a[110:111], v[8:11]// 000000005DB4: D3F30008 1C22DD86
	buffer_load_dword v77, s[20:23], 0 offen lds               // 000000005DBC: E0511000 8005004D
	s_add_u32 m0, 0, s48                                       // 000000005DC4: 807C3080
	v_fma_f32 v128, v12, v4, v128                              // 000000005DC8: D1CB0080 0602090C
	v_fma_f32 v129, v13, v4, v129                              // 000000005DD0: D1CB0081 0606090D
	v_fma_f32 v130, v14, v4, v130                              // 000000005DD8: D1CB0082 060A090E
	v_fma_f32 v131, v15, v4, v131                              // 000000005DE0: D1CB0083 060E090F
	v_mfma_f32_16x16x32_fp8_fp8 v[12:15], a[136:137], a[104:105], 0// 000000005DE8: D3F3000C 1A02D188
	v_mfma_f32_16x16x32_fp8_fp8 v[12:15], a[138:139], a[106:107], v[12:15]// 000000005DF0: D3F3000C 1C32D58A
	buffer_load_dword v54, v30, s[28:31], 0 offen              // 000000005DF8: E0501000 8007361E
	v_mfma_f32_16x16x32_fp8_fp8 v[12:15], a[140:141], a[108:109], v[12:15]// 000000005E00: D3F3000C 1C32D98C
	v_mfma_f32_16x16x32_fp8_fp8 v[12:15], a[142:143], a[110:111], v[12:15]// 000000005E08: D3F3000C 1C32DD8E
	buffer_load_dword v55, v31, s[28:31], 0 offen              // 000000005E10: E0501000 8007371F
	v_fma_f32 v100, v8, v6, v100                               // 000000005E18: D1CB0064 05920D08
	v_fma_f32 v101, v9, v6, v101                               // 000000005E20: D1CB0065 05960D09
	v_fma_f32 v102, v10, v6, v102                              // 000000005E28: D1CB0066 059A0D0A
	v_fma_f32 v103, v11, v6, v103                              // 000000005E30: D1CB0067 059E0D0B
	v_mul_f32_dpp v4, v24, v44 row_newbcast:0 row_mask:0xf bank_mask:0xf// 000000005E38: 0A0858FA FF015018
	v_mfma_f32_16x16x32_fp8_fp8 v[8:11], a[128:129], a[112:113], 0// 000000005E40: D3F30008 1A02E180
	v_mfma_f32_16x16x32_fp8_fp8 v[8:11], a[130:131], a[114:115], v[8:11]// 000000005E48: D3F30008 1C22E582
	buffer_load_dword v56, v32, s[28:31], 0 offen              // 000000005E50: E0501000 80073820
	v_mfma_f32_16x16x32_fp8_fp8 v[8:11], a[132:133], a[116:117], v[8:11]// 000000005E58: D3F30008 1C22E984
	v_mfma_f32_16x16x32_fp8_fp8 v[8:11], a[134:135], a[118:119], v[8:11]// 000000005E60: D3F30008 1C22ED86
	buffer_load_dword v57, v33, s[28:31], 0 offen              // 000000005E68: E0501000 80073921
	v_fma_f32 v132, v12, v6, v132                              // 000000005E70: D1CB0084 06120D0C
	v_fma_f32 v133, v13, v6, v133                              // 000000005E78: D1CB0085 06160D0D
	v_fma_f32 v134, v14, v6, v134                              // 000000005E80: D1CB0086 061A0D0E
	v_fma_f32 v135, v15, v6, v135                              // 000000005E88: D1CB0087 061E0D0F
	v_mfma_f32_16x16x32_fp8_fp8 v[12:15], a[136:137], a[112:113], 0// 000000005E90: D3F3000C 1A02E188
	v_mfma_f32_16x16x32_fp8_fp8 v[12:15], a[138:139], a[114:115], v[12:15]// 000000005E98: D3F3000C 1C32E58A
	buffer_load_dword v58, v34, s[28:31], 0 offen              // 000000005EA0: E0501000 80073A22
	v_mfma_f32_16x16x32_fp8_fp8 v[12:15], a[140:141], a[116:117], v[12:15]// 000000005EA8: D3F3000C 1C32E98C
	v_mfma_f32_16x16x32_fp8_fp8 v[12:15], a[142:143], a[118:119], v[12:15]// 000000005EB0: D3F3000C 1C32ED8E
	buffer_load_dword v59, v35, s[28:31], 0 offen              // 000000005EB8: E0501000 80073B23
	v_fma_f32 v104, v8, v4, v104                               // 000000005EC0: D1CB0068 05A20908
	v_fma_f32 v105, v9, v4, v105                               // 000000005EC8: D1CB0069 05A60909
	v_fma_f32 v106, v10, v4, v106                              // 000000005ED0: D1CB006A 05AA090A
	v_fma_f32 v107, v11, v4, v107                              // 000000005ED8: D1CB006B 05AE090B
	v_mul_f32_dpp v6, v24, v45 row_newbcast:0 row_mask:0xf bank_mask:0xf// 000000005EE0: 0A0C5AFA FF015018
	v_mfma_f32_16x16x32_fp8_fp8 v[8:11], a[128:129], a[120:121], 0// 000000005EE8: D3F30008 1A02F180
	v_mfma_f32_16x16x32_fp8_fp8 v[8:11], a[130:131], a[122:123], v[8:11]// 000000005EF0: D3F30008 1C22F582
	buffer_load_dword v60, v36, s[28:31], 0 offen              // 000000005EF8: E0501000 80073C24
	v_mfma_f32_16x16x32_fp8_fp8 v[8:11], a[132:133], a[124:125], v[8:11]// 000000005F00: D3F30008 1C22F984
	v_mfma_f32_16x16x32_fp8_fp8 v[8:11], a[134:135], a[126:127], v[8:11]// 000000005F08: D3F30008 1C22FD86
	buffer_load_dword v61, v37, s[28:31], 0 offen              // 000000005F10: E0501000 80073D25
	v_fma_f32 v136, v12, v4, v136                              // 000000005F18: D1CB0088 0622090C
	v_fma_f32 v137, v13, v4, v137                              // 000000005F20: D1CB0089 0626090D
	v_fma_f32 v138, v14, v4, v138                              // 000000005F28: D1CB008A 062A090E
	v_fma_f32 v139, v15, v4, v139                              // 000000005F30: D1CB008B 062E090F
	v_mfma_f32_16x16x32_fp8_fp8 v[12:15], a[136:137], a[120:121], 0// 000000005F38: D3F3000C 1A02F188
	v_mfma_f32_16x16x32_fp8_fp8 v[12:15], a[138:139], a[122:123], v[12:15]// 000000005F40: D3F3000C 1C32F58A
	v_mfma_f32_16x16x32_fp8_fp8 v[12:15], a[140:141], a[124:125], v[12:15]// 000000005F48: D3F3000C 1C32F98C
	v_mfma_f32_16x16x32_fp8_fp8 v[12:15], a[142:143], a[126:127], v[12:15]// 000000005F50: D3F3000C 1C32FD8E
	v_fma_f32 v108, v8, v6, v108                               // 000000005F58: D1CB006C 05B20D08
	v_fma_f32 v109, v9, v6, v109                               // 000000005F60: D1CB006D 05B60D09
	v_fma_f32 v110, v10, v6, v110                              // 000000005F68: D1CB006E 05BA0D0A
	v_fma_f32 v111, v11, v6, v111                              // 000000005F70: D1CB006F 05BE0D0B
	v_fma_f32 v140, v12, v6, v140                              // 000000005F78: D1CB008C 06320D0C
	v_fma_f32 v141, v13, v6, v141                              // 000000005F80: D1CB008D 06360D0D
	v_fma_f32 v142, v14, v6, v142                              // 000000005F88: D1CB008E 063A0D0E
	v_fma_f32 v143, v15, v6, v143                              // 000000005F90: D1CB008F 063E0D0F
	s_waitcnt vmcnt(29)                                        // 000000005F98: BF8C4F7D
	s_barrier                                                  // 000000005F9C: BF8A0000
	v_mul_f32_dpp v4, v27, v38 row_newbcast:0 row_mask:0xf bank_mask:0xf// 000000005FA0: 0A084CFA FF01501B
	v_mfma_f32_16x16x32_fp8_fp8 v[8:11], a[144:145], a[64:65], 0// 000000005FA8: D3F30008 1A028190
	buffer_load_dword v28, v23, s[32:35], 0 offen              // 000000005FB0: E0501000 80081C17
	v_mfma_f32_16x16x32_fp8_fp8 v[8:11], a[146:147], a[66:67], v[8:11]// 000000005FB8: D3F30008 1C228592
	buffer_load_dwordx4 a[128:131], v78, s[84:87], 0 offen     // 000000005FC0: E05C1000 8095804E
	v_mfma_f32_16x16x32_fp8_fp8 v[8:11], a[148:149], a[68:69], v[8:11]// 000000005FC8: D3F30008 1C228994
	v_mfma_f32_16x16x32_fp8_fp8 v[8:11], a[150:151], a[70:71], v[8:11]// 000000005FD0: D3F30008 1C228D96
	ds_read_b128 a[0:3], v2 offset:16512                       // 000000005FD8: DBFE4080 00000002
	ds_read_b128 a[4:7], v2 offset:16576                       // 000000005FE0: DBFE40C0 04000002
	v_mfma_f32_16x16x32_fp8_fp8 v[12:15], a[152:153], a[64:65], 0// 000000005FE8: D3F3000C 1A028198
	v_mfma_f32_16x16x32_fp8_fp8 v[12:15], a[154:155], a[66:67], v[12:15]// 000000005FF0: D3F3000C 1C32859A
	buffer_load_dwordx4 a[132:135], v78, s[84:87], 0 offen offset:1024// 000000005FF8: E05C1400 8095844E
	v_mfma_f32_16x16x32_fp8_fp8 v[12:15], a[156:157], a[68:69], v[12:15]// 000000006000: D3F3000C 1C32899C
	v_mfma_f32_16x16x32_fp8_fp8 v[12:15], a[158:159], a[70:71], v[12:15]// 000000006008: D3F3000C 1C328D9E
	ds_read_b128 a[8:11], v2 offset:17024                      // 000000006010: DBFE4280 08000002
	ds_read_b128 a[12:15], v2 offset:17088                     // 000000006018: DBFE42C0 0C000002
	v_fma_f32 v144, v8, v4, v144                               // 000000006020: D1CB0090 06420908
	v_fma_f32 v145, v9, v4, v145                               // 000000006028: D1CB0091 06460909
	v_fma_f32 v146, v10, v4, v146                              // 000000006030: D1CB0092 064A090A
	v_fma_f32 v147, v11, v4, v147                              // 000000006038: D1CB0093 064E090B
	v_mul_f32_dpp v6, v27, v39 row_newbcast:0 row_mask:0xf bank_mask:0xf// 000000006040: 0A0C4EFA FF01501B
	v_mfma_f32_16x16x32_fp8_fp8 v[8:11], a[144:145], a[72:73], 0// 000000006048: D3F30008 1A029190
	v_mfma_f32_16x16x32_fp8_fp8 v[8:11], a[146:147], a[74:75], v[8:11]// 000000006050: D3F30008 1C229592
	buffer_load_dwordx4 a[136:139], v79, s[84:87], 0 offen     // 000000006058: E05C1000 8095884F
	v_mfma_f32_16x16x32_fp8_fp8 v[8:11], a[148:149], a[76:77], v[8:11]// 000000006060: D3F30008 1C229994
	v_mfma_f32_16x16x32_fp8_fp8 v[8:11], a[150:151], a[78:79], v[8:11]// 000000006068: D3F30008 1C229D96
	ds_read_b128 a[16:19], v2 offset:17536                     // 000000006070: DBFE4480 10000002
	ds_read_b128 a[20:23], v2 offset:17600                     // 000000006078: DBFE44C0 14000002
	v_fma_f32 v176, v12, v4, v176                              // 000000006080: D1CB00B0 06C2090C
	v_fma_f32 v177, v13, v4, v177                              // 000000006088: D1CB00B1 06C6090D
	v_fma_f32 v178, v14, v4, v178                              // 000000006090: D1CB00B2 06CA090E
	v_fma_f32 v179, v15, v4, v179                              // 000000006098: D1CB00B3 06CE090F
	v_mfma_f32_16x16x32_fp8_fp8 v[12:15], a[152:153], a[72:73], 0// 0000000060A0: D3F3000C 1A029198
	v_mfma_f32_16x16x32_fp8_fp8 v[12:15], a[154:155], a[74:75], v[12:15]// 0000000060A8: D3F3000C 1C32959A
	buffer_load_dwordx4 a[140:143], v79, s[84:87], 0 offen offset:1024// 0000000060B0: E05C1400 80958C4F
	v_mfma_f32_16x16x32_fp8_fp8 v[12:15], a[156:157], a[76:77], v[12:15]// 0000000060B8: D3F3000C 1C32999C
	v_mfma_f32_16x16x32_fp8_fp8 v[12:15], a[158:159], a[78:79], v[12:15]// 0000000060C0: D3F3000C 1C329D9E
	ds_read_b128 a[24:27], v2 offset:18048                     // 0000000060C8: DBFE4680 18000002
	ds_read_b128 a[28:31], v2 offset:18112                     // 0000000060D0: DBFE46C0 1C000002
	v_fma_f32 v148, v8, v6, v148                               // 0000000060D8: D1CB0094 06520D08
	v_fma_f32 v149, v9, v6, v149                               // 0000000060E0: D1CB0095 06560D09
	v_fma_f32 v150, v10, v6, v150                              // 0000000060E8: D1CB0096 065A0D0A
	v_fma_f32 v151, v11, v6, v151                              // 0000000060F0: D1CB0097 065E0D0B
	v_mul_f32_dpp v4, v27, v40 row_newbcast:0 row_mask:0xf bank_mask:0xf// 0000000060F8: 0A0850FA FF01501B
	v_mfma_f32_16x16x32_fp8_fp8 v[8:11], a[144:145], a[80:81], 0// 000000006100: D3F30008 1A02A190
	v_mfma_f32_16x16x32_fp8_fp8 v[8:11], a[146:147], a[82:83], v[8:11]// 000000006108: D3F30008 1C22A592
	v_mfma_f32_16x16x32_fp8_fp8 v[8:11], a[148:149], a[84:85], v[8:11]// 000000006110: D3F30008 1C22A994
	v_mfma_f32_16x16x32_fp8_fp8 v[8:11], a[150:151], a[86:87], v[8:11]// 000000006118: D3F30008 1C22AD96
	ds_read_b128 a[32:35], v2 offset:18560                     // 000000006120: DBFE4880 20000002
	ds_read_b128 a[36:39], v2 offset:18624                     // 000000006128: DBFE48C0 24000002
	v_fma_f32 v180, v12, v6, v180                              // 000000006130: D1CB00B4 06D20D0C
	v_fma_f32 v181, v13, v6, v181                              // 000000006138: D1CB00B5 06D60D0D
	v_fma_f32 v182, v14, v6, v182                              // 000000006140: D1CB00B6 06DA0D0E
	v_fma_f32 v183, v15, v6, v183                              // 000000006148: D1CB00B7 06DE0D0F
	v_mfma_f32_16x16x32_fp8_fp8 v[12:15], a[152:153], a[80:81], 0// 000000006150: D3F3000C 1A02A198
	v_mfma_f32_16x16x32_fp8_fp8 v[12:15], a[154:155], a[82:83], v[12:15]// 000000006158: D3F3000C 1C32A59A
	v_mfma_f32_16x16x32_fp8_fp8 v[12:15], a[156:157], a[84:85], v[12:15]// 000000006160: D3F3000C 1C32A99C
	v_mfma_f32_16x16x32_fp8_fp8 v[12:15], a[158:159], a[86:87], v[12:15]// 000000006168: D3F3000C 1C32AD9E
	ds_read_b128 a[40:43], v2 offset:19072                     // 000000006170: DBFE4A80 28000002
	ds_read_b128 a[44:47], v2 offset:19136                     // 000000006178: DBFE4AC0 2C000002
	v_fma_f32 v152, v8, v4, v152                               // 000000006180: D1CB0098 06620908
	v_fma_f32 v153, v9, v4, v153                               // 000000006188: D1CB0099 06660909
	v_fma_f32 v154, v10, v4, v154                              // 000000006190: D1CB009A 066A090A
	v_fma_f32 v155, v11, v4, v155                              // 000000006198: D1CB009B 066E090B
	v_mul_f32_dpp v6, v27, v41 row_newbcast:0 row_mask:0xf bank_mask:0xf// 0000000061A0: 0A0C52FA FF01501B
	v_mfma_f32_16x16x32_fp8_fp8 v[8:11], a[144:145], a[88:89], 0// 0000000061A8: D3F30008 1A02B190
	v_mfma_f32_16x16x32_fp8_fp8 v[8:11], a[146:147], a[90:91], v[8:11]// 0000000061B0: D3F30008 1C22B592
	v_mfma_f32_16x16x32_fp8_fp8 v[8:11], a[148:149], a[92:93], v[8:11]// 0000000061B8: D3F30008 1C22B994
	v_mfma_f32_16x16x32_fp8_fp8 v[8:11], a[150:151], a[94:95], v[8:11]// 0000000061C0: D3F30008 1C22BD96
	ds_read_b128 a[48:51], v2 offset:19584                     // 0000000061C8: DBFE4C80 30000002
	ds_read_b128 a[52:55], v2 offset:19648                     // 0000000061D0: DBFE4CC0 34000002
	v_fma_f32 v184, v12, v4, v184                              // 0000000061D8: D1CB00B8 06E2090C
	v_fma_f32 v185, v13, v4, v185                              // 0000000061E0: D1CB00B9 06E6090D
	v_fma_f32 v186, v14, v4, v186                              // 0000000061E8: D1CB00BA 06EA090E
	v_fma_f32 v187, v15, v4, v187                              // 0000000061F0: D1CB00BB 06EE090F
	v_mfma_f32_16x16x32_fp8_fp8 v[12:15], a[152:153], a[88:89], 0// 0000000061F8: D3F3000C 1A02B198
	v_mfma_f32_16x16x32_fp8_fp8 v[12:15], a[154:155], a[90:91], v[12:15]// 000000006200: D3F3000C 1C32B59A
	v_mfma_f32_16x16x32_fp8_fp8 v[12:15], a[156:157], a[92:93], v[12:15]// 000000006208: D3F3000C 1C32B99C
	v_mfma_f32_16x16x32_fp8_fp8 v[12:15], a[158:159], a[94:95], v[12:15]// 000000006210: D3F3000C 1C32BD9E
	ds_read_b128 a[56:59], v2 offset:20096                     // 000000006218: DBFE4E80 38000002
	ds_read_b128 a[60:63], v2 offset:20160                     // 000000006220: DBFE4EC0 3C000002
	v_fma_f32 v156, v8, v6, v156                               // 000000006228: D1CB009C 06720D08
	v_fma_f32 v157, v9, v6, v157                               // 000000006230: D1CB009D 06760D09
	v_fma_f32 v158, v10, v6, v158                              // 000000006238: D1CB009E 067A0D0A
	v_fma_f32 v159, v11, v6, v159                              // 000000006240: D1CB009F 067E0D0B
	v_mul_f32_dpp v4, v27, v42 row_newbcast:0 row_mask:0xf bank_mask:0xf// 000000006248: 0A0854FA FF01501B
	v_mfma_f32_16x16x32_fp8_fp8 v[8:11], a[144:145], a[96:97], 0// 000000006250: D3F30008 1A02C190
	v_mfma_f32_16x16x32_fp8_fp8 v[8:11], a[146:147], a[98:99], v[8:11]// 000000006258: D3F30008 1C22C592
	v_mfma_f32_16x16x32_fp8_fp8 v[8:11], a[148:149], a[100:101], v[8:11]// 000000006260: D3F30008 1C22C994
	v_mfma_f32_16x16x32_fp8_fp8 v[8:11], a[150:151], a[102:103], v[8:11]// 000000006268: D3F30008 1C22CD96
	v_fma_f32 v188, v12, v6, v188                              // 000000006270: D1CB00BC 06F20D0C
	v_fma_f32 v189, v13, v6, v189                              // 000000006278: D1CB00BD 06F60D0D
	v_fma_f32 v190, v14, v6, v190                              // 000000006280: D1CB00BE 06FA0D0E
	v_fma_f32 v191, v15, v6, v191                              // 000000006288: D1CB00BF 06FE0D0F
	v_mfma_f32_16x16x32_fp8_fp8 v[12:15], a[152:153], a[96:97], 0// 000000006290: D3F3000C 1A02C198
	v_mfma_f32_16x16x32_fp8_fp8 v[12:15], a[154:155], a[98:99], v[12:15]// 000000006298: D3F3000C 1C32C59A
	v_mfma_f32_16x16x32_fp8_fp8 v[12:15], a[156:157], a[100:101], v[12:15]// 0000000062A0: D3F3000C 1C32C99C
	v_mfma_f32_16x16x32_fp8_fp8 v[12:15], a[158:159], a[102:103], v[12:15]// 0000000062A8: D3F3000C 1C32CD9E
	v_fma_f32 v160, v8, v4, v160                               // 0000000062B0: D1CB00A0 06820908
	v_fma_f32 v161, v9, v4, v161                               // 0000000062B8: D1CB00A1 06860909
	v_fma_f32 v162, v10, v4, v162                              // 0000000062C0: D1CB00A2 068A090A
	v_fma_f32 v163, v11, v4, v163                              // 0000000062C8: D1CB00A3 068E090B
	v_mul_f32_dpp v6, v27, v43 row_newbcast:0 row_mask:0xf bank_mask:0xf// 0000000062D0: 0A0C56FA FF01501B
	v_mfma_f32_16x16x32_fp8_fp8 v[8:11], a[144:145], a[104:105], 0// 0000000062D8: D3F30008 1A02D190
	v_mfma_f32_16x16x32_fp8_fp8 v[8:11], a[146:147], a[106:107], v[8:11]// 0000000062E0: D3F30008 1C22D592
	v_mfma_f32_16x16x32_fp8_fp8 v[8:11], a[148:149], a[108:109], v[8:11]// 0000000062E8: D3F30008 1C22D994
	v_mfma_f32_16x16x32_fp8_fp8 v[8:11], a[150:151], a[110:111], v[8:11]// 0000000062F0: D3F30008 1C22DD96
	v_fma_f32 v192, v12, v4, v192                              // 0000000062F8: D1CB00C0 0702090C
	v_fma_f32 v193, v13, v4, v193                              // 000000006300: D1CB00C1 0706090D
	v_fma_f32 v194, v14, v4, v194                              // 000000006308: D1CB00C2 070A090E
	v_fma_f32 v195, v15, v4, v195                              // 000000006310: D1CB00C3 070E090F
	v_mfma_f32_16x16x32_fp8_fp8 v[12:15], a[152:153], a[104:105], 0// 000000006318: D3F3000C 1A02D198
	v_mfma_f32_16x16x32_fp8_fp8 v[12:15], a[154:155], a[106:107], v[12:15]// 000000006320: D3F3000C 1C32D59A
	v_mfma_f32_16x16x32_fp8_fp8 v[12:15], a[156:157], a[108:109], v[12:15]// 000000006328: D3F3000C 1C32D99C
	v_mfma_f32_16x16x32_fp8_fp8 v[12:15], a[158:159], a[110:111], v[12:15]// 000000006330: D3F3000C 1C32DD9E
	v_fma_f32 v164, v8, v6, v164                               // 000000006338: D1CB00A4 06920D08
	v_fma_f32 v165, v9, v6, v165                               // 000000006340: D1CB00A5 06960D09
	v_fma_f32 v166, v10, v6, v166                              // 000000006348: D1CB00A6 069A0D0A
	v_fma_f32 v167, v11, v6, v167                              // 000000006350: D1CB00A7 069E0D0B
	v_mul_f32_dpp v4, v27, v44 row_newbcast:0 row_mask:0xf bank_mask:0xf// 000000006358: 0A0858FA FF01501B
	v_mfma_f32_16x16x32_fp8_fp8 v[8:11], a[144:145], a[112:113], 0// 000000006360: D3F30008 1A02E190
	v_mfma_f32_16x16x32_fp8_fp8 v[8:11], a[146:147], a[114:115], v[8:11]// 000000006368: D3F30008 1C22E592
	v_mfma_f32_16x16x32_fp8_fp8 v[8:11], a[148:149], a[116:117], v[8:11]// 000000006370: D3F30008 1C22E994
	v_mfma_f32_16x16x32_fp8_fp8 v[8:11], a[150:151], a[118:119], v[8:11]// 000000006378: D3F30008 1C22ED96
	v_fma_f32 v196, v12, v6, v196                              // 000000006380: D1CB00C4 07120D0C
	v_fma_f32 v197, v13, v6, v197                              // 000000006388: D1CB00C5 07160D0D
	v_fma_f32 v198, v14, v6, v198                              // 000000006390: D1CB00C6 071A0D0E
	v_fma_f32 v199, v15, v6, v199                              // 000000006398: D1CB00C7 071E0D0F
	v_mfma_f32_16x16x32_fp8_fp8 v[12:15], a[152:153], a[112:113], 0// 0000000063A0: D3F3000C 1A02E198
	v_mfma_f32_16x16x32_fp8_fp8 v[12:15], a[154:155], a[114:115], v[12:15]// 0000000063A8: D3F3000C 1C32E59A
	v_mfma_f32_16x16x32_fp8_fp8 v[12:15], a[156:157], a[116:117], v[12:15]// 0000000063B0: D3F3000C 1C32E99C
	v_mfma_f32_16x16x32_fp8_fp8 v[12:15], a[158:159], a[118:119], v[12:15]// 0000000063B8: D3F3000C 1C32ED9E
	v_fma_f32 v168, v8, v4, v168                               // 0000000063C0: D1CB00A8 06A20908
	v_fma_f32 v169, v9, v4, v169                               // 0000000063C8: D1CB00A9 06A60909
	v_fma_f32 v170, v10, v4, v170                              // 0000000063D0: D1CB00AA 06AA090A
	v_fma_f32 v171, v11, v4, v171                              // 0000000063D8: D1CB00AB 06AE090B
	v_mul_f32_dpp v6, v27, v45 row_newbcast:0 row_mask:0xf bank_mask:0xf// 0000000063E0: 0A0C5AFA FF01501B
	v_mfma_f32_16x16x32_fp8_fp8 v[8:11], a[144:145], a[120:121], 0// 0000000063E8: D3F30008 1A02F190
	s_add_u32 s60, 0x180, s80                                  // 0000000063F0: 803C50FF 00000180
	s_cmp_lt_u32 s60, s81                                      // 0000000063F8: BF0A513C
	s_cselect_b32 s57, s57, 0                                  // 0000000063FC: 85398039
	s_cselect_b32 s3, s3, 0                                    // 000000006400: 85038003
	v_mfma_f32_16x16x32_fp8_fp8 v[8:11], a[146:147], a[122:123], v[8:11]// 000000006404: D3F30008 1C22F592
	s_add_u32 s60, 0x100, s80                                  // 00000000640C: 803C50FF 00000100
	s_cmp_lt_u32 s60, s81                                      // 000000006414: BF0A513C
	s_cselect_b32 s58, s58, 0                                  // 000000006418: 853A803A
	v_mfma_f32_16x16x32_fp8_fp8 v[8:11], a[148:149], a[124:125], v[8:11]// 00000000641C: D3F30008 1C22F994
	s_add_u32 s60, 0x100, s80                                  // 000000006424: 803C50FF 00000100
	s_cmp_lt_u32 s60, s81                                      // 00000000642C: BF0A513C
	s_cselect_b32 s83, s83, 0                                  // 000000006430: 85538053
	s_cselect_b32 s4, s4, 0                                    // 000000006434: 85048004
	v_mfma_f32_16x16x32_fp8_fp8 v[8:11], a[150:151], a[126:127], v[8:11]// 000000006438: D3F30008 1C22FD96
	s_add_u32 s24, s58, s24                                    // 000000006440: 8018183A
	s_addc_u32 s25, 0, s25                                     // 000000006444: 82191980
	v_fma_f32 v200, v12, v4, v200                              // 000000006448: D1CB00C8 0722090C
	v_fma_f32 v201, v13, v4, v201                              // 000000006450: D1CB00C9 0726090D
	v_fma_f32 v202, v14, v4, v202                              // 000000006458: D1CB00CA 072A090E
	v_fma_f32 v203, v15, v4, v203                              // 000000006460: D1CB00CB 072E090F
	v_mfma_f32_16x16x32_fp8_fp8 v[12:15], a[152:153], a[120:121], 0// 000000006468: D3F3000C 1A02F198
	s_add_u32 s20, s57, s20                                    // 000000006470: 80141439
	s_addc_u32 s21, 0, s21                                     // 000000006474: 82151580
	s_add_u32 s28, s3, s28                                     // 000000006478: 801C1C03
	s_addc_u32 s29, 0, s29                                     // 00000000647C: 821D1D80
	v_mfma_f32_16x16x32_fp8_fp8 v[12:15], a[154:155], a[122:123], v[12:15]// 000000006480: D3F3000C 1C32F59A
	s_add_u32 s84, s83, s84                                    // 000000006488: 80545453
	s_addc_u32 s85, 0, s85                                     // 00000000648C: 82555580
	v_mfma_f32_16x16x32_fp8_fp8 v[12:15], a[156:157], a[124:125], v[12:15]// 000000006490: D3F3000C 1C32F99C
	s_add_u32 s32, s4, s32                                     // 000000006498: 80202004
	s_addc_u32 s33, 0, s33                                     // 00000000649C: 82212180
	v_mfma_f32_16x16x32_fp8_fp8 v[12:15], a[158:159], a[126:127], v[12:15]// 0000000064A0: D3F3000C 1C32FD9E
	v_fma_f32 v172, v8, v6, v172                               // 0000000064A8: D1CB00AC 06B20D08
	v_fma_f32 v173, v9, v6, v173                               // 0000000064B0: D1CB00AD 06B60D09
	v_fma_f32 v174, v10, v6, v174                              // 0000000064B8: D1CB00AE 06BA0D0A
	v_fma_f32 v175, v11, v6, v175                              // 0000000064C0: D1CB00AF 06BE0D0B
	v_fma_f32 v204, v12, v6, v204                              // 0000000064C8: D1CB00CC 07320D0C
	v_fma_f32 v205, v13, v6, v205                              // 0000000064D0: D1CB00CD 07360D0D
	v_fma_f32 v206, v14, v6, v206                              // 0000000064D8: D1CB00CE 073A0D0E
	v_fma_f32 v207, v15, v6, v207                              // 0000000064E0: D1CB00CF 073E0D0F
	s_addk_i32 s80, 0x80                                       // 0000000064E8: B7500080
	s_cmp_lt_i32 s80, s81                                      // 0000000064EC: BF045150
	s_cbranch_scc0 label_1440                                  // 0000000064F0: BF840583
	s_waitcnt vmcnt(29) lgkmcnt(0)                             // 0000000064F4: BF8C407D
	v_mul_f32_dpp v4, v25, v46 row_newbcast:0 row_mask:0xf bank_mask:0xf// 0000000064F8: 0A085CFA FF015019
	v_mfma_f32_16x16x32_fp8_fp8 v[8:11], a[160:161], a[0:1], 0 // 000000006500: D3F30008 1A0201A0
	buffer_load_dword v26, v22, s[32:35], 0 offen              // 000000006508: E0501000 80081A16
	v_mfma_f32_16x16x32_fp8_fp8 v[8:11], a[162:163], a[2:3], v[8:11]// 000000006510: D3F30008 1C2205A2
	buffer_load_dwordx4 a[144:147], v78, s[24:27], 0 offen     // 000000006518: E05C1000 8086904E
	v_mfma_f32_16x16x32_fp8_fp8 v[8:11], a[164:165], a[4:5], v[8:11]// 000000006520: D3F30008 1C2209A4
	v_mfma_f32_16x16x32_fp8_fp8 v[8:11], a[166:167], a[6:7], v[8:11]// 000000006528: D3F30008 1C220DA6
	v_mfma_f32_16x16x32_fp8_fp8 v[12:15], a[168:169], a[0:1], 0// 000000006530: D3F3000C 1A0201A8
	v_mfma_f32_16x16x32_fp8_fp8 v[12:15], a[170:171], a[2:3], v[12:15]// 000000006538: D3F3000C 1C3205AA
	buffer_load_dwordx4 a[148:151], v78, s[24:27], 0 offen offset:1024// 000000006540: E05C1400 8086944E
	v_mfma_f32_16x16x32_fp8_fp8 v[12:15], a[172:173], a[4:5], v[12:15]// 000000006548: D3F3000C 1C3209AC
	v_mfma_f32_16x16x32_fp8_fp8 v[12:15], a[174:175], a[6:7], v[12:15]// 000000006550: D3F3000C 1C320DAE
	v_fma_f32 v80, v8, v4, v80                                 // 000000006558: D1CB0050 05420908
	v_fma_f32 v81, v9, v4, v81                                 // 000000006560: D1CB0051 05460909
	v_fma_f32 v82, v10, v4, v82                                // 000000006568: D1CB0052 054A090A
	v_fma_f32 v83, v11, v4, v83                                // 000000006570: D1CB0053 054E090B
	v_mul_f32_dpp v6, v25, v47 row_newbcast:0 row_mask:0xf bank_mask:0xf// 000000006578: 0A0C5EFA FF015019
	v_mfma_f32_16x16x32_fp8_fp8 v[8:11], a[160:161], a[8:9], 0 // 000000006580: D3F30008 1A0211A0
	v_mfma_f32_16x16x32_fp8_fp8 v[8:11], a[162:163], a[10:11], v[8:11]// 000000006588: D3F30008 1C2215A2
	buffer_load_dwordx4 a[152:155], v79, s[24:27], 0 offen     // 000000006590: E05C1000 8086984F
	v_mfma_f32_16x16x32_fp8_fp8 v[8:11], a[164:165], a[12:13], v[8:11]// 000000006598: D3F30008 1C2219A4
	v_mfma_f32_16x16x32_fp8_fp8 v[8:11], a[166:167], a[14:15], v[8:11]// 0000000065A0: D3F30008 1C221DA6
	v_fma_f32 v112, v12, v4, v112                              // 0000000065A8: D1CB0070 05C2090C
	v_fma_f32 v113, v13, v4, v113                              // 0000000065B0: D1CB0071 05C6090D
	v_fma_f32 v114, v14, v4, v114                              // 0000000065B8: D1CB0072 05CA090E
	v_fma_f32 v115, v15, v4, v115                              // 0000000065C0: D1CB0073 05CE090F
	v_mfma_f32_16x16x32_fp8_fp8 v[12:15], a[168:169], a[8:9], 0// 0000000065C8: D3F3000C 1A0211A8
	v_mfma_f32_16x16x32_fp8_fp8 v[12:15], a[170:171], a[10:11], v[12:15]// 0000000065D0: D3F3000C 1C3215AA
	buffer_load_dwordx4 a[156:159], v79, s[24:27], 0 offen offset:1024// 0000000065D8: E05C1400 80869C4F
	buffer_load_dword v62, s[20:23], 0 offen lds               // 0000000065E0: E0511000 8005003E
	s_add_u32 m0, 0x100, s48                                   // 0000000065E8: 807C30FF 00000100
	v_mfma_f32_16x16x32_fp8_fp8 v[12:15], a[172:173], a[12:13], v[12:15]// 0000000065F0: D3F3000C 1C3219AC
	v_mfma_f32_16x16x32_fp8_fp8 v[12:15], a[174:175], a[14:15], v[12:15]// 0000000065F8: D3F3000C 1C321DAE
	buffer_load_dword v63, s[20:23], 0 offen lds               // 000000006600: E0511000 8005003F
	s_add_u32 m0, 0x200, s48                                   // 000000006608: 807C30FF 00000200
	v_fma_f32 v84, v8, v6, v84                                 // 000000006610: D1CB0054 05520D08
	v_fma_f32 v85, v9, v6, v85                                 // 000000006618: D1CB0055 05560D09
	v_fma_f32 v86, v10, v6, v86                                // 000000006620: D1CB0056 055A0D0A
	v_fma_f32 v87, v11, v6, v87                                // 000000006628: D1CB0057 055E0D0B
	v_mul_f32_dpp v4, v25, v48 row_newbcast:0 row_mask:0xf bank_mask:0xf// 000000006630: 0A0860FA FF015019
	v_mfma_f32_16x16x32_fp8_fp8 v[8:11], a[160:161], a[16:17], 0// 000000006638: D3F30008 1A0221A0
	v_mfma_f32_16x16x32_fp8_fp8 v[8:11], a[162:163], a[18:19], v[8:11]// 000000006640: D3F30008 1C2225A2
	buffer_load_dword v64, s[20:23], 0 offen lds               // 000000006648: E0511000 80050040
	s_add_u32 m0, 0x300, s48                                   // 000000006650: 807C30FF 00000300
	v_mfma_f32_16x16x32_fp8_fp8 v[8:11], a[164:165], a[20:21], v[8:11]// 000000006658: D3F30008 1C2229A4
	v_mfma_f32_16x16x32_fp8_fp8 v[8:11], a[166:167], a[22:23], v[8:11]// 000000006660: D3F30008 1C222DA6
	buffer_load_dword v65, s[20:23], 0 offen lds               // 000000006668: E0511000 80050041
	s_add_u32 m0, 0x400, s48                                   // 000000006670: 807C30FF 00000400
	v_fma_f32 v116, v12, v6, v116                              // 000000006678: D1CB0074 05D20D0C
	v_fma_f32 v117, v13, v6, v117                              // 000000006680: D1CB0075 05D60D0D
	v_fma_f32 v118, v14, v6, v118                              // 000000006688: D1CB0076 05DA0D0E
	v_fma_f32 v119, v15, v6, v119                              // 000000006690: D1CB0077 05DE0D0F
	v_mfma_f32_16x16x32_fp8_fp8 v[12:15], a[168:169], a[16:17], 0// 000000006698: D3F3000C 1A0221A8
	v_mfma_f32_16x16x32_fp8_fp8 v[12:15], a[170:171], a[18:19], v[12:15]// 0000000066A0: D3F3000C 1C3225AA
	buffer_load_dword v66, s[20:23], 0 offen lds               // 0000000066A8: E0511000 80050042
	s_add_u32 m0, 0x500, s48                                   // 0000000066B0: 807C30FF 00000500
	v_mfma_f32_16x16x32_fp8_fp8 v[12:15], a[172:173], a[20:21], v[12:15]// 0000000066B8: D3F3000C 1C3229AC
	v_mfma_f32_16x16x32_fp8_fp8 v[12:15], a[174:175], a[22:23], v[12:15]// 0000000066C0: D3F3000C 1C322DAE
	buffer_load_dword v67, s[20:23], 0 offen lds               // 0000000066C8: E0511000 80050043
	s_add_u32 m0, 0x600, s48                                   // 0000000066D0: 807C30FF 00000600
	v_fma_f32 v88, v8, v4, v88                                 // 0000000066D8: D1CB0058 05620908
	v_fma_f32 v89, v9, v4, v89                                 // 0000000066E0: D1CB0059 05660909
	v_fma_f32 v90, v10, v4, v90                                // 0000000066E8: D1CB005A 056A090A
	v_fma_f32 v91, v11, v4, v91                                // 0000000066F0: D1CB005B 056E090B
	v_mul_f32_dpp v6, v25, v49 row_newbcast:0 row_mask:0xf bank_mask:0xf// 0000000066F8: 0A0C62FA FF015019
	v_mfma_f32_16x16x32_fp8_fp8 v[8:11], a[160:161], a[24:25], 0// 000000006700: D3F30008 1A0231A0
	v_mfma_f32_16x16x32_fp8_fp8 v[8:11], a[162:163], a[26:27], v[8:11]// 000000006708: D3F30008 1C2235A2
	buffer_load_dword v68, s[20:23], 0 offen lds               // 000000006710: E0511000 80050044
	s_add_u32 m0, 0x700, s48                                   // 000000006718: 807C30FF 00000700
	v_mfma_f32_16x16x32_fp8_fp8 v[8:11], a[164:165], a[28:29], v[8:11]// 000000006720: D3F30008 1C2239A4
	v_mfma_f32_16x16x32_fp8_fp8 v[8:11], a[166:167], a[30:31], v[8:11]// 000000006728: D3F30008 1C223DA6
	buffer_load_dword v69, s[20:23], 0 offen lds               // 000000006730: E0511000 80050045
	s_add_u32 m0, 0x800, s48                                   // 000000006738: 807C30FF 00000800
	v_fma_f32 v120, v12, v4, v120                              // 000000006740: D1CB0078 05E2090C
	v_fma_f32 v121, v13, v4, v121                              // 000000006748: D1CB0079 05E6090D
	v_fma_f32 v122, v14, v4, v122                              // 000000006750: D1CB007A 05EA090E
	v_fma_f32 v123, v15, v4, v123                              // 000000006758: D1CB007B 05EE090F
	v_mfma_f32_16x16x32_fp8_fp8 v[12:15], a[168:169], a[24:25], 0// 000000006760: D3F3000C 1A0231A8
	v_mfma_f32_16x16x32_fp8_fp8 v[12:15], a[170:171], a[26:27], v[12:15]// 000000006768: D3F3000C 1C3235AA
	buffer_load_dword v70, s[20:23], 0 offen lds               // 000000006770: E0511000 80050046
	s_add_u32 m0, 0x900, s48                                   // 000000006778: 807C30FF 00000900
	v_mfma_f32_16x16x32_fp8_fp8 v[12:15], a[172:173], a[28:29], v[12:15]// 000000006780: D3F3000C 1C3239AC
	v_mfma_f32_16x16x32_fp8_fp8 v[12:15], a[174:175], a[30:31], v[12:15]// 000000006788: D3F3000C 1C323DAE
	buffer_load_dword v71, s[20:23], 0 offen lds               // 000000006790: E0511000 80050047
	s_add_u32 m0, 0xa00, s48                                   // 000000006798: 807C30FF 00000A00
	v_fma_f32 v92, v8, v6, v92                                 // 0000000067A0: D1CB005C 05720D08
	v_fma_f32 v93, v9, v6, v93                                 // 0000000067A8: D1CB005D 05760D09
	v_fma_f32 v94, v10, v6, v94                                // 0000000067B0: D1CB005E 057A0D0A
	v_fma_f32 v95, v11, v6, v95                                // 0000000067B8: D1CB005F 057E0D0B
	v_mul_f32_dpp v4, v25, v50 row_newbcast:0 row_mask:0xf bank_mask:0xf// 0000000067C0: 0A0864FA FF015019
	v_mfma_f32_16x16x32_fp8_fp8 v[8:11], a[160:161], a[32:33], 0// 0000000067C8: D3F30008 1A0241A0
	v_mfma_f32_16x16x32_fp8_fp8 v[8:11], a[162:163], a[34:35], v[8:11]// 0000000067D0: D3F30008 1C2245A2
	buffer_load_dword v72, s[20:23], 0 offen lds               // 0000000067D8: E0511000 80050048
	s_add_u32 m0, 0xb00, s48                                   // 0000000067E0: 807C30FF 00000B00
	v_mfma_f32_16x16x32_fp8_fp8 v[8:11], a[164:165], a[36:37], v[8:11]// 0000000067E8: D3F30008 1C2249A4
	v_mfma_f32_16x16x32_fp8_fp8 v[8:11], a[166:167], a[38:39], v[8:11]// 0000000067F0: D3F30008 1C224DA6
	buffer_load_dword v73, s[20:23], 0 offen lds               // 0000000067F8: E0511000 80050049
	s_add_u32 m0, 0xc00, s48                                   // 000000006800: 807C30FF 00000C00
	v_fma_f32 v124, v12, v6, v124                              // 000000006808: D1CB007C 05F20D0C
	v_fma_f32 v125, v13, v6, v125                              // 000000006810: D1CB007D 05F60D0D
	v_fma_f32 v126, v14, v6, v126                              // 000000006818: D1CB007E 05FA0D0E
	v_fma_f32 v127, v15, v6, v127                              // 000000006820: D1CB007F 05FE0D0F
	v_mfma_f32_16x16x32_fp8_fp8 v[12:15], a[168:169], a[32:33], 0// 000000006828: D3F3000C 1A0241A8
	v_mfma_f32_16x16x32_fp8_fp8 v[12:15], a[170:171], a[34:35], v[12:15]// 000000006830: D3F3000C 1C3245AA
	buffer_load_dword v74, s[20:23], 0 offen lds               // 000000006838: E0511000 8005004A
	s_add_u32 m0, 0xd00, s48                                   // 000000006840: 807C30FF 00000D00
	v_mfma_f32_16x16x32_fp8_fp8 v[12:15], a[172:173], a[36:37], v[12:15]// 000000006848: D3F3000C 1C3249AC
	v_mfma_f32_16x16x32_fp8_fp8 v[12:15], a[174:175], a[38:39], v[12:15]// 000000006850: D3F3000C 1C324DAE
	buffer_load_dword v75, s[20:23], 0 offen lds               // 000000006858: E0511000 8005004B
	s_add_u32 m0, 0xe00, s48                                   // 000000006860: 807C30FF 00000E00
	v_fma_f32 v96, v8, v4, v96                                 // 000000006868: D1CB0060 05820908
	v_fma_f32 v97, v9, v4, v97                                 // 000000006870: D1CB0061 05860909
	v_fma_f32 v98, v10, v4, v98                                // 000000006878: D1CB0062 058A090A
	v_fma_f32 v99, v11, v4, v99                                // 000000006880: D1CB0063 058E090B
	v_mul_f32_dpp v6, v25, v51 row_newbcast:0 row_mask:0xf bank_mask:0xf// 000000006888: 0A0C66FA FF015019
	v_mfma_f32_16x16x32_fp8_fp8 v[8:11], a[160:161], a[40:41], 0// 000000006890: D3F30008 1A0251A0
	v_mfma_f32_16x16x32_fp8_fp8 v[8:11], a[162:163], a[42:43], v[8:11]// 000000006898: D3F30008 1C2255A2
	buffer_load_dword v76, s[20:23], 0 offen lds               // 0000000068A0: E0511000 8005004C
	s_add_u32 m0, 0xf00, s48                                   // 0000000068A8: 807C30FF 00000F00
	v_mfma_f32_16x16x32_fp8_fp8 v[8:11], a[164:165], a[44:45], v[8:11]// 0000000068B0: D3F30008 1C2259A4
	v_mfma_f32_16x16x32_fp8_fp8 v[8:11], a[166:167], a[46:47], v[8:11]// 0000000068B8: D3F30008 1C225DA6
	buffer_load_dword v77, s[20:23], 0 offen lds               // 0000000068C0: E0511000 8005004D
	s_add_u32 m0, 0, s49                                       // 0000000068C8: 807C3180
	v_fma_f32 v128, v12, v4, v128                              // 0000000068CC: D1CB0080 0602090C
	v_fma_f32 v129, v13, v4, v129                              // 0000000068D4: D1CB0081 0606090D
	v_fma_f32 v130, v14, v4, v130                              // 0000000068DC: D1CB0082 060A090E
	v_fma_f32 v131, v15, v4, v131                              // 0000000068E4: D1CB0083 060E090F
	v_mfma_f32_16x16x32_fp8_fp8 v[12:15], a[168:169], a[40:41], 0// 0000000068EC: D3F3000C 1A0251A8
	v_mfma_f32_16x16x32_fp8_fp8 v[12:15], a[170:171], a[42:43], v[12:15]// 0000000068F4: D3F3000C 1C3255AA
	buffer_load_dword v38, v30, s[28:31], 0 offen              // 0000000068FC: E0501000 8007261E
	v_mfma_f32_16x16x32_fp8_fp8 v[12:15], a[172:173], a[44:45], v[12:15]// 000000006904: D3F3000C 1C3259AC
	v_mfma_f32_16x16x32_fp8_fp8 v[12:15], a[174:175], a[46:47], v[12:15]// 00000000690C: D3F3000C 1C325DAE
	buffer_load_dword v39, v31, s[28:31], 0 offen              // 000000006914: E0501000 8007271F
	v_fma_f32 v100, v8, v6, v100                               // 00000000691C: D1CB0064 05920D08
	v_fma_f32 v101, v9, v6, v101                               // 000000006924: D1CB0065 05960D09
	v_fma_f32 v102, v10, v6, v102                              // 00000000692C: D1CB0066 059A0D0A
	v_fma_f32 v103, v11, v6, v103                              // 000000006934: D1CB0067 059E0D0B
	v_mul_f32_dpp v4, v25, v52 row_newbcast:0 row_mask:0xf bank_mask:0xf// 00000000693C: 0A0868FA FF015019
	v_mfma_f32_16x16x32_fp8_fp8 v[8:11], a[160:161], a[48:49], 0// 000000006944: D3F30008 1A0261A0
	v_mfma_f32_16x16x32_fp8_fp8 v[8:11], a[162:163], a[50:51], v[8:11]// 00000000694C: D3F30008 1C2265A2
	buffer_load_dword v40, v32, s[28:31], 0 offen              // 000000006954: E0501000 80072820
	v_mfma_f32_16x16x32_fp8_fp8 v[8:11], a[164:165], a[52:53], v[8:11]// 00000000695C: D3F30008 1C2269A4
	v_mfma_f32_16x16x32_fp8_fp8 v[8:11], a[166:167], a[54:55], v[8:11]// 000000006964: D3F30008 1C226DA6
	buffer_load_dword v41, v33, s[28:31], 0 offen              // 00000000696C: E0501000 80072921
	v_fma_f32 v132, v12, v6, v132                              // 000000006974: D1CB0084 06120D0C
	v_fma_f32 v133, v13, v6, v133                              // 00000000697C: D1CB0085 06160D0D
	v_fma_f32 v134, v14, v6, v134                              // 000000006984: D1CB0086 061A0D0E
	v_fma_f32 v135, v15, v6, v135                              // 00000000698C: D1CB0087 061E0D0F
	v_mfma_f32_16x16x32_fp8_fp8 v[12:15], a[168:169], a[48:49], 0// 000000006994: D3F3000C 1A0261A8
	v_mfma_f32_16x16x32_fp8_fp8 v[12:15], a[170:171], a[50:51], v[12:15]// 00000000699C: D3F3000C 1C3265AA
	buffer_load_dword v42, v34, s[28:31], 0 offen              // 0000000069A4: E0501000 80072A22
	v_mfma_f32_16x16x32_fp8_fp8 v[12:15], a[172:173], a[52:53], v[12:15]// 0000000069AC: D3F3000C 1C3269AC
	v_mfma_f32_16x16x32_fp8_fp8 v[12:15], a[174:175], a[54:55], v[12:15]// 0000000069B4: D3F3000C 1C326DAE
	buffer_load_dword v43, v35, s[28:31], 0 offen              // 0000000069BC: E0501000 80072B23
	v_fma_f32 v104, v8, v4, v104                               // 0000000069C4: D1CB0068 05A20908
	v_fma_f32 v105, v9, v4, v105                               // 0000000069CC: D1CB0069 05A60909
	v_fma_f32 v106, v10, v4, v106                              // 0000000069D4: D1CB006A 05AA090A
	v_fma_f32 v107, v11, v4, v107                              // 0000000069DC: D1CB006B 05AE090B
	v_mul_f32_dpp v6, v25, v53 row_newbcast:0 row_mask:0xf bank_mask:0xf// 0000000069E4: 0A0C6AFA FF015019
	v_mfma_f32_16x16x32_fp8_fp8 v[8:11], a[160:161], a[56:57], 0// 0000000069EC: D3F30008 1A0271A0
	v_mfma_f32_16x16x32_fp8_fp8 v[8:11], a[162:163], a[58:59], v[8:11]// 0000000069F4: D3F30008 1C2275A2
	buffer_load_dword v44, v36, s[28:31], 0 offen              // 0000000069FC: E0501000 80072C24
	v_mfma_f32_16x16x32_fp8_fp8 v[8:11], a[164:165], a[60:61], v[8:11]// 000000006A04: D3F30008 1C2279A4
	v_mfma_f32_16x16x32_fp8_fp8 v[8:11], a[166:167], a[62:63], v[8:11]// 000000006A0C: D3F30008 1C227DA6
	buffer_load_dword v45, v37, s[28:31], 0 offen              // 000000006A14: E0501000 80072D25
	v_fma_f32 v136, v12, v4, v136                              // 000000006A1C: D1CB0088 0622090C
	v_fma_f32 v137, v13, v4, v137                              // 000000006A24: D1CB0089 0626090D
	v_fma_f32 v138, v14, v4, v138                              // 000000006A2C: D1CB008A 062A090E
	v_fma_f32 v139, v15, v4, v139                              // 000000006A34: D1CB008B 062E090F
	v_mfma_f32_16x16x32_fp8_fp8 v[12:15], a[168:169], a[56:57], 0// 000000006A3C: D3F3000C 1A0271A8
	v_mfma_f32_16x16x32_fp8_fp8 v[12:15], a[170:171], a[58:59], v[12:15]// 000000006A44: D3F3000C 1C3275AA
	v_mfma_f32_16x16x32_fp8_fp8 v[12:15], a[172:173], a[60:61], v[12:15]// 000000006A4C: D3F3000C 1C3279AC
	v_mfma_f32_16x16x32_fp8_fp8 v[12:15], a[174:175], a[62:63], v[12:15]// 000000006A54: D3F3000C 1C327DAE
	v_fma_f32 v108, v8, v6, v108                               // 000000006A5C: D1CB006C 05B20D08
	v_fma_f32 v109, v9, v6, v109                               // 000000006A64: D1CB006D 05B60D09
	v_fma_f32 v110, v10, v6, v110                              // 000000006A6C: D1CB006E 05BA0D0A
	v_fma_f32 v111, v11, v6, v111                              // 000000006A74: D1CB006F 05BE0D0B
	v_fma_f32 v140, v12, v6, v140                              // 000000006A7C: D1CB008C 06320D0C
	v_fma_f32 v141, v13, v6, v141                              // 000000006A84: D1CB008D 06360D0D
	v_fma_f32 v142, v14, v6, v142                              // 000000006A8C: D1CB008E 063A0D0E
	v_fma_f32 v143, v15, v6, v143                              // 000000006A94: D1CB008F 063E0D0F
	s_waitcnt vmcnt(29)                                        // 000000006A9C: BF8C4F7D
	s_barrier                                                  // 000000006AA0: BF8A0000
	v_mul_f32_dpp v4, v28, v46 row_newbcast:0 row_mask:0xf bank_mask:0xf// 000000006AA4: 0A085CFA FF01501C
	v_mfma_f32_16x16x32_fp8_fp8 v[8:11], a[128:129], a[0:1], 0 // 000000006AAC: D3F30008 1A020180
	buffer_load_dword v29, v23, s[32:35], 0 offen              // 000000006AB4: E0501000 80081D17
	v_mfma_f32_16x16x32_fp8_fp8 v[8:11], a[130:131], a[2:3], v[8:11]// 000000006ABC: D3F30008 1C220582
	buffer_load_dwordx4 a[160:163], v78, s[84:87], 0 offen     // 000000006AC4: E05C1000 8095A04E
	v_mfma_f32_16x16x32_fp8_fp8 v[8:11], a[132:133], a[4:5], v[8:11]// 000000006ACC: D3F30008 1C220984
	v_mfma_f32_16x16x32_fp8_fp8 v[8:11], a[134:135], a[6:7], v[8:11]// 000000006AD4: D3F30008 1C220D86
	ds_read_b128 a[64:67], v2 offset:33024                     // 000000006ADC: DBFE8100 40000002
	ds_read_b128 a[68:71], v2 offset:33088                     // 000000006AE4: DBFE8140 44000002
	v_mfma_f32_16x16x32_fp8_fp8 v[12:15], a[136:137], a[0:1], 0// 000000006AEC: D3F3000C 1A020188
	v_mfma_f32_16x16x32_fp8_fp8 v[12:15], a[138:139], a[2:3], v[12:15]// 000000006AF4: D3F3000C 1C32058A
	buffer_load_dwordx4 a[164:167], v78, s[84:87], 0 offen offset:1024// 000000006AFC: E05C1400 8095A44E
	v_mfma_f32_16x16x32_fp8_fp8 v[12:15], a[140:141], a[4:5], v[12:15]// 000000006B04: D3F3000C 1C32098C
	v_mfma_f32_16x16x32_fp8_fp8 v[12:15], a[142:143], a[6:7], v[12:15]// 000000006B0C: D3F3000C 1C320D8E
	ds_read_b128 a[72:75], v2 offset:33536                     // 000000006B14: DBFE8300 48000002
	ds_read_b128 a[76:79], v2 offset:33600                     // 000000006B1C: DBFE8340 4C000002
	v_fma_f32 v144, v8, v4, v144                               // 000000006B24: D1CB0090 06420908
	v_fma_f32 v145, v9, v4, v145                               // 000000006B2C: D1CB0091 06460909
	v_fma_f32 v146, v10, v4, v146                              // 000000006B34: D1CB0092 064A090A
	v_fma_f32 v147, v11, v4, v147                              // 000000006B3C: D1CB0093 064E090B
	v_mul_f32_dpp v6, v28, v47 row_newbcast:0 row_mask:0xf bank_mask:0xf// 000000006B44: 0A0C5EFA FF01501C
	v_mfma_f32_16x16x32_fp8_fp8 v[8:11], a[128:129], a[8:9], 0 // 000000006B4C: D3F30008 1A021180
	v_mfma_f32_16x16x32_fp8_fp8 v[8:11], a[130:131], a[10:11], v[8:11]// 000000006B54: D3F30008 1C221582
	buffer_load_dwordx4 a[168:171], v79, s[84:87], 0 offen     // 000000006B5C: E05C1000 8095A84F
	v_mfma_f32_16x16x32_fp8_fp8 v[8:11], a[132:133], a[12:13], v[8:11]// 000000006B64: D3F30008 1C221984
	v_mfma_f32_16x16x32_fp8_fp8 v[8:11], a[134:135], a[14:15], v[8:11]// 000000006B6C: D3F30008 1C221D86
	ds_read_b128 a[80:83], v2 offset:34048                     // 000000006B74: DBFE8500 50000002
	ds_read_b128 a[84:87], v2 offset:34112                     // 000000006B7C: DBFE8540 54000002
	v_fma_f32 v176, v12, v4, v176                              // 000000006B84: D1CB00B0 06C2090C
	v_fma_f32 v177, v13, v4, v177                              // 000000006B8C: D1CB00B1 06C6090D
	v_fma_f32 v178, v14, v4, v178                              // 000000006B94: D1CB00B2 06CA090E
	v_fma_f32 v179, v15, v4, v179                              // 000000006B9C: D1CB00B3 06CE090F
	v_mfma_f32_16x16x32_fp8_fp8 v[12:15], a[136:137], a[8:9], 0// 000000006BA4: D3F3000C 1A021188
	v_mfma_f32_16x16x32_fp8_fp8 v[12:15], a[138:139], a[10:11], v[12:15]// 000000006BAC: D3F3000C 1C32158A
	buffer_load_dwordx4 a[172:175], v79, s[84:87], 0 offen offset:1024// 000000006BB4: E05C1400 8095AC4F
	v_mfma_f32_16x16x32_fp8_fp8 v[12:15], a[140:141], a[12:13], v[12:15]// 000000006BBC: D3F3000C 1C32198C
	v_mfma_f32_16x16x32_fp8_fp8 v[12:15], a[142:143], a[14:15], v[12:15]// 000000006BC4: D3F3000C 1C321D8E
	ds_read_b128 a[88:91], v2 offset:34560                     // 000000006BCC: DBFE8700 58000002
	ds_read_b128 a[92:95], v2 offset:34624                     // 000000006BD4: DBFE8740 5C000002
	v_fma_f32 v148, v8, v6, v148                               // 000000006BDC: D1CB0094 06520D08
	v_fma_f32 v149, v9, v6, v149                               // 000000006BE4: D1CB0095 06560D09
	v_fma_f32 v150, v10, v6, v150                              // 000000006BEC: D1CB0096 065A0D0A
	v_fma_f32 v151, v11, v6, v151                              // 000000006BF4: D1CB0097 065E0D0B
	v_mul_f32_dpp v4, v28, v48 row_newbcast:0 row_mask:0xf bank_mask:0xf// 000000006BFC: 0A0860FA FF01501C
	v_mfma_f32_16x16x32_fp8_fp8 v[8:11], a[128:129], a[16:17], 0// 000000006C04: D3F30008 1A022180
	v_mfma_f32_16x16x32_fp8_fp8 v[8:11], a[130:131], a[18:19], v[8:11]// 000000006C0C: D3F30008 1C222582
	v_mfma_f32_16x16x32_fp8_fp8 v[8:11], a[132:133], a[20:21], v[8:11]// 000000006C14: D3F30008 1C222984
	v_mfma_f32_16x16x32_fp8_fp8 v[8:11], a[134:135], a[22:23], v[8:11]// 000000006C1C: D3F30008 1C222D86
	ds_read_b128 a[96:99], v2 offset:35072                     // 000000006C24: DBFE8900 60000002
	ds_read_b128 a[100:103], v2 offset:35136                   // 000000006C2C: DBFE8940 64000002
	v_fma_f32 v180, v12, v6, v180                              // 000000006C34: D1CB00B4 06D20D0C
	v_fma_f32 v181, v13, v6, v181                              // 000000006C3C: D1CB00B5 06D60D0D
	v_fma_f32 v182, v14, v6, v182                              // 000000006C44: D1CB00B6 06DA0D0E
	v_fma_f32 v183, v15, v6, v183                              // 000000006C4C: D1CB00B7 06DE0D0F
	v_mfma_f32_16x16x32_fp8_fp8 v[12:15], a[136:137], a[16:17], 0// 000000006C54: D3F3000C 1A022188
	v_mfma_f32_16x16x32_fp8_fp8 v[12:15], a[138:139], a[18:19], v[12:15]// 000000006C5C: D3F3000C 1C32258A
	v_mfma_f32_16x16x32_fp8_fp8 v[12:15], a[140:141], a[20:21], v[12:15]// 000000006C64: D3F3000C 1C32298C
	v_mfma_f32_16x16x32_fp8_fp8 v[12:15], a[142:143], a[22:23], v[12:15]// 000000006C6C: D3F3000C 1C322D8E
	ds_read_b128 a[104:107], v2 offset:35584                   // 000000006C74: DBFE8B00 68000002
	ds_read_b128 a[108:111], v2 offset:35648                   // 000000006C7C: DBFE8B40 6C000002
	v_fma_f32 v152, v8, v4, v152                               // 000000006C84: D1CB0098 06620908
	v_fma_f32 v153, v9, v4, v153                               // 000000006C8C: D1CB0099 06660909
	v_fma_f32 v154, v10, v4, v154                              // 000000006C94: D1CB009A 066A090A
	v_fma_f32 v155, v11, v4, v155                              // 000000006C9C: D1CB009B 066E090B
	v_mul_f32_dpp v6, v28, v49 row_newbcast:0 row_mask:0xf bank_mask:0xf// 000000006CA4: 0A0C62FA FF01501C
	v_mfma_f32_16x16x32_fp8_fp8 v[8:11], a[128:129], a[24:25], 0// 000000006CAC: D3F30008 1A023180
	v_mfma_f32_16x16x32_fp8_fp8 v[8:11], a[130:131], a[26:27], v[8:11]// 000000006CB4: D3F30008 1C223582
	v_mfma_f32_16x16x32_fp8_fp8 v[8:11], a[132:133], a[28:29], v[8:11]// 000000006CBC: D3F30008 1C223984
	v_mfma_f32_16x16x32_fp8_fp8 v[8:11], a[134:135], a[30:31], v[8:11]// 000000006CC4: D3F30008 1C223D86
	ds_read_b128 a[112:115], v2 offset:36096                   // 000000006CCC: DBFE8D00 70000002
	ds_read_b128 a[116:119], v2 offset:36160                   // 000000006CD4: DBFE8D40 74000002
	v_fma_f32 v184, v12, v4, v184                              // 000000006CDC: D1CB00B8 06E2090C
	v_fma_f32 v185, v13, v4, v185                              // 000000006CE4: D1CB00B9 06E6090D
	v_fma_f32 v186, v14, v4, v186                              // 000000006CEC: D1CB00BA 06EA090E
	v_fma_f32 v187, v15, v4, v187                              // 000000006CF4: D1CB00BB 06EE090F
	v_mfma_f32_16x16x32_fp8_fp8 v[12:15], a[136:137], a[24:25], 0// 000000006CFC: D3F3000C 1A023188
	v_mfma_f32_16x16x32_fp8_fp8 v[12:15], a[138:139], a[26:27], v[12:15]// 000000006D04: D3F3000C 1C32358A
	v_mfma_f32_16x16x32_fp8_fp8 v[12:15], a[140:141], a[28:29], v[12:15]// 000000006D0C: D3F3000C 1C32398C
	v_mfma_f32_16x16x32_fp8_fp8 v[12:15], a[142:143], a[30:31], v[12:15]// 000000006D14: D3F3000C 1C323D8E
	ds_read_b128 a[120:123], v2 offset:36608                   // 000000006D1C: DBFE8F00 78000002
	ds_read_b128 a[124:127], v2 offset:36672                   // 000000006D24: DBFE8F40 7C000002
	v_fma_f32 v156, v8, v6, v156                               // 000000006D2C: D1CB009C 06720D08
	v_fma_f32 v157, v9, v6, v157                               // 000000006D34: D1CB009D 06760D09
	v_fma_f32 v158, v10, v6, v158                              // 000000006D3C: D1CB009E 067A0D0A
	v_fma_f32 v159, v11, v6, v159                              // 000000006D44: D1CB009F 067E0D0B
	v_mul_f32_dpp v4, v28, v50 row_newbcast:0 row_mask:0xf bank_mask:0xf// 000000006D4C: 0A0864FA FF01501C
	v_mfma_f32_16x16x32_fp8_fp8 v[8:11], a[128:129], a[32:33], 0// 000000006D54: D3F30008 1A024180
	v_mfma_f32_16x16x32_fp8_fp8 v[8:11], a[130:131], a[34:35], v[8:11]// 000000006D5C: D3F30008 1C224582
	v_mfma_f32_16x16x32_fp8_fp8 v[8:11], a[132:133], a[36:37], v[8:11]// 000000006D64: D3F30008 1C224984
	v_mfma_f32_16x16x32_fp8_fp8 v[8:11], a[134:135], a[38:39], v[8:11]// 000000006D6C: D3F30008 1C224D86
	v_fma_f32 v188, v12, v6, v188                              // 000000006D74: D1CB00BC 06F20D0C
	v_fma_f32 v189, v13, v6, v189                              // 000000006D7C: D1CB00BD 06F60D0D
	v_fma_f32 v190, v14, v6, v190                              // 000000006D84: D1CB00BE 06FA0D0E
	v_fma_f32 v191, v15, v6, v191                              // 000000006D8C: D1CB00BF 06FE0D0F
	v_mfma_f32_16x16x32_fp8_fp8 v[12:15], a[136:137], a[32:33], 0// 000000006D94: D3F3000C 1A024188
	v_mfma_f32_16x16x32_fp8_fp8 v[12:15], a[138:139], a[34:35], v[12:15]// 000000006D9C: D3F3000C 1C32458A
	v_mfma_f32_16x16x32_fp8_fp8 v[12:15], a[140:141], a[36:37], v[12:15]// 000000006DA4: D3F3000C 1C32498C
	v_mfma_f32_16x16x32_fp8_fp8 v[12:15], a[142:143], a[38:39], v[12:15]// 000000006DAC: D3F3000C 1C324D8E
	v_fma_f32 v160, v8, v4, v160                               // 000000006DB4: D1CB00A0 06820908
	v_fma_f32 v161, v9, v4, v161                               // 000000006DBC: D1CB00A1 06860909
	v_fma_f32 v162, v10, v4, v162                              // 000000006DC4: D1CB00A2 068A090A
	v_fma_f32 v163, v11, v4, v163                              // 000000006DCC: D1CB00A3 068E090B
	v_mul_f32_dpp v6, v28, v51 row_newbcast:0 row_mask:0xf bank_mask:0xf// 000000006DD4: 0A0C66FA FF01501C
	v_mfma_f32_16x16x32_fp8_fp8 v[8:11], a[128:129], a[40:41], 0// 000000006DDC: D3F30008 1A025180
	v_mfma_f32_16x16x32_fp8_fp8 v[8:11], a[130:131], a[42:43], v[8:11]// 000000006DE4: D3F30008 1C225582
	v_mfma_f32_16x16x32_fp8_fp8 v[8:11], a[132:133], a[44:45], v[8:11]// 000000006DEC: D3F30008 1C225984
	v_mfma_f32_16x16x32_fp8_fp8 v[8:11], a[134:135], a[46:47], v[8:11]// 000000006DF4: D3F30008 1C225D86
	v_fma_f32 v192, v12, v4, v192                              // 000000006DFC: D1CB00C0 0702090C
	v_fma_f32 v193, v13, v4, v193                              // 000000006E04: D1CB00C1 0706090D
	v_fma_f32 v194, v14, v4, v194                              // 000000006E0C: D1CB00C2 070A090E
	v_fma_f32 v195, v15, v4, v195                              // 000000006E14: D1CB00C3 070E090F
	v_mfma_f32_16x16x32_fp8_fp8 v[12:15], a[136:137], a[40:41], 0// 000000006E1C: D3F3000C 1A025188
	v_mfma_f32_16x16x32_fp8_fp8 v[12:15], a[138:139], a[42:43], v[12:15]// 000000006E24: D3F3000C 1C32558A
	v_mfma_f32_16x16x32_fp8_fp8 v[12:15], a[140:141], a[44:45], v[12:15]// 000000006E2C: D3F3000C 1C32598C
	v_mfma_f32_16x16x32_fp8_fp8 v[12:15], a[142:143], a[46:47], v[12:15]// 000000006E34: D3F3000C 1C325D8E
	v_fma_f32 v164, v8, v6, v164                               // 000000006E3C: D1CB00A4 06920D08
	v_fma_f32 v165, v9, v6, v165                               // 000000006E44: D1CB00A5 06960D09
	v_fma_f32 v166, v10, v6, v166                              // 000000006E4C: D1CB00A6 069A0D0A
	v_fma_f32 v167, v11, v6, v167                              // 000000006E54: D1CB00A7 069E0D0B
	v_mul_f32_dpp v4, v28, v52 row_newbcast:0 row_mask:0xf bank_mask:0xf// 000000006E5C: 0A0868FA FF01501C
	v_mfma_f32_16x16x32_fp8_fp8 v[8:11], a[128:129], a[48:49], 0// 000000006E64: D3F30008 1A026180
	v_mfma_f32_16x16x32_fp8_fp8 v[8:11], a[130:131], a[50:51], v[8:11]// 000000006E6C: D3F30008 1C226582
	v_mfma_f32_16x16x32_fp8_fp8 v[8:11], a[132:133], a[52:53], v[8:11]// 000000006E74: D3F30008 1C226984
	v_mfma_f32_16x16x32_fp8_fp8 v[8:11], a[134:135], a[54:55], v[8:11]// 000000006E7C: D3F30008 1C226D86
	v_fma_f32 v196, v12, v6, v196                              // 000000006E84: D1CB00C4 07120D0C
	v_fma_f32 v197, v13, v6, v197                              // 000000006E8C: D1CB00C5 07160D0D
	v_fma_f32 v198, v14, v6, v198                              // 000000006E94: D1CB00C6 071A0D0E
	v_fma_f32 v199, v15, v6, v199                              // 000000006E9C: D1CB00C7 071E0D0F
	v_mfma_f32_16x16x32_fp8_fp8 v[12:15], a[136:137], a[48:49], 0// 000000006EA4: D3F3000C 1A026188
	v_mfma_f32_16x16x32_fp8_fp8 v[12:15], a[138:139], a[50:51], v[12:15]// 000000006EAC: D3F3000C 1C32658A
	v_mfma_f32_16x16x32_fp8_fp8 v[12:15], a[140:141], a[52:53], v[12:15]// 000000006EB4: D3F3000C 1C32698C
	v_mfma_f32_16x16x32_fp8_fp8 v[12:15], a[142:143], a[54:55], v[12:15]// 000000006EBC: D3F3000C 1C326D8E
	v_fma_f32 v168, v8, v4, v168                               // 000000006EC4: D1CB00A8 06A20908
	v_fma_f32 v169, v9, v4, v169                               // 000000006ECC: D1CB00A9 06A60909
	v_fma_f32 v170, v10, v4, v170                              // 000000006ED4: D1CB00AA 06AA090A
	v_fma_f32 v171, v11, v4, v171                              // 000000006EDC: D1CB00AB 06AE090B
	v_mul_f32_dpp v6, v28, v53 row_newbcast:0 row_mask:0xf bank_mask:0xf// 000000006EE4: 0A0C6AFA FF01501C
	v_mfma_f32_16x16x32_fp8_fp8 v[8:11], a[128:129], a[56:57], 0// 000000006EEC: D3F30008 1A027180
	s_add_u32 s60, 0x180, s80                                  // 000000006EF4: 803C50FF 00000180
	s_cmp_lt_u32 s60, s81                                      // 000000006EFC: BF0A513C
	s_cselect_b32 s57, s57, 0                                  // 000000006F00: 85398039
	s_cselect_b32 s3, s3, 0                                    // 000000006F04: 85038003
	v_mfma_f32_16x16x32_fp8_fp8 v[8:11], a[130:131], a[58:59], v[8:11]// 000000006F08: D3F30008 1C227582
	s_add_u32 s60, 0x100, s80                                  // 000000006F10: 803C50FF 00000100
	s_cmp_lt_u32 s60, s81                                      // 000000006F18: BF0A513C
	s_cselect_b32 s58, s58, 0                                  // 000000006F1C: 853A803A
	v_mfma_f32_16x16x32_fp8_fp8 v[8:11], a[132:133], a[60:61], v[8:11]// 000000006F20: D3F30008 1C227984
	s_add_u32 s60, 0x100, s80                                  // 000000006F28: 803C50FF 00000100
	s_cmp_lt_u32 s60, s81                                      // 000000006F30: BF0A513C
	s_cselect_b32 s83, s83, 0                                  // 000000006F34: 85538053
	s_cselect_b32 s4, s4, 0                                    // 000000006F38: 85048004
	v_mfma_f32_16x16x32_fp8_fp8 v[8:11], a[134:135], a[62:63], v[8:11]// 000000006F3C: D3F30008 1C227D86
	s_add_u32 s24, s58, s24                                    // 000000006F44: 8018183A
	s_addc_u32 s25, 0, s25                                     // 000000006F48: 82191980
	v_fma_f32 v200, v12, v4, v200                              // 000000006F4C: D1CB00C8 0722090C
	v_fma_f32 v201, v13, v4, v201                              // 000000006F54: D1CB00C9 0726090D
	v_fma_f32 v202, v14, v4, v202                              // 000000006F5C: D1CB00CA 072A090E
	v_fma_f32 v203, v15, v4, v203                              // 000000006F64: D1CB00CB 072E090F
	v_mfma_f32_16x16x32_fp8_fp8 v[12:15], a[136:137], a[56:57], 0// 000000006F6C: D3F3000C 1A027188
	s_add_u32 s20, s57, s20                                    // 000000006F74: 80141439
	s_addc_u32 s21, 0, s21                                     // 000000006F78: 82151580
	s_add_u32 s28, s3, s28                                     // 000000006F7C: 801C1C03
	s_addc_u32 s29, 0, s29                                     // 000000006F80: 821D1D80
	v_mfma_f32_16x16x32_fp8_fp8 v[12:15], a[138:139], a[58:59], v[12:15]// 000000006F84: D3F3000C 1C32758A
	s_add_u32 s84, s83, s84                                    // 000000006F8C: 80545453
	s_addc_u32 s85, 0, s85                                     // 000000006F90: 82555580
	v_mfma_f32_16x16x32_fp8_fp8 v[12:15], a[140:141], a[60:61], v[12:15]// 000000006F94: D3F3000C 1C32798C
	s_add_u32 s32, s4, s32                                     // 000000006F9C: 80202004
	s_addc_u32 s33, 0, s33                                     // 000000006FA0: 82212180
	v_mfma_f32_16x16x32_fp8_fp8 v[12:15], a[142:143], a[62:63], v[12:15]// 000000006FA4: D3F3000C 1C327D8E
	v_fma_f32 v172, v8, v6, v172                               // 000000006FAC: D1CB00AC 06B20D08
	v_fma_f32 v173, v9, v6, v173                               // 000000006FB4: D1CB00AD 06B60D09
	v_fma_f32 v174, v10, v6, v174                              // 000000006FBC: D1CB00AE 06BA0D0A
	v_fma_f32 v175, v11, v6, v175                              // 000000006FC4: D1CB00AF 06BE0D0B
	v_fma_f32 v204, v12, v6, v204                              // 000000006FCC: D1CB00CC 07320D0C
	v_fma_f32 v205, v13, v6, v205                              // 000000006FD4: D1CB00CD 07360D0D
	v_fma_f32 v206, v14, v6, v206                              // 000000006FDC: D1CB00CE 073A0D0E
	v_fma_f32 v207, v15, v6, v207                              // 000000006FE4: D1CB00CF 073E0D0F
	s_addk_i32 s80, 0x80                                       // 000000006FEC: B7500080
	s_cmp_lt_i32 s80, s81                                      // 000000006FF0: BF045150
	s_cbranch_scc0 label_1440                                  // 000000006FF4: BF8402C2
	s_waitcnt vmcnt(29) lgkmcnt(0)                             // 000000006FF8: BF8C407D
	v_mul_f32_dpp v4, v26, v54 row_newbcast:0 row_mask:0xf bank_mask:0xf// 000000006FFC: 0A086CFA FF01501A
	v_mfma_f32_16x16x32_fp8_fp8 v[8:11], a[144:145], a[64:65], 0// 000000007004: D3F30008 1A028190
	buffer_load_dword v24, v22, s[32:35], 0 offen              // 00000000700C: E0501000 80081816
	v_mfma_f32_16x16x32_fp8_fp8 v[8:11], a[146:147], a[66:67], v[8:11]// 000000007014: D3F30008 1C228592
	buffer_load_dwordx4 a[128:131], v78, s[24:27], 0 offen     // 00000000701C: E05C1000 8086804E
	v_mfma_f32_16x16x32_fp8_fp8 v[8:11], a[148:149], a[68:69], v[8:11]// 000000007024: D3F30008 1C228994
	v_mfma_f32_16x16x32_fp8_fp8 v[8:11], a[150:151], a[70:71], v[8:11]// 00000000702C: D3F30008 1C228D96
	v_mfma_f32_16x16x32_fp8_fp8 v[12:15], a[152:153], a[64:65], 0// 000000007034: D3F3000C 1A028198
	v_mfma_f32_16x16x32_fp8_fp8 v[12:15], a[154:155], a[66:67], v[12:15]// 00000000703C: D3F3000C 1C32859A
	buffer_load_dwordx4 a[132:135], v78, s[24:27], 0 offen offset:1024// 000000007044: E05C1400 8086844E
	v_mfma_f32_16x16x32_fp8_fp8 v[12:15], a[156:157], a[68:69], v[12:15]// 00000000704C: D3F3000C 1C32899C
	v_mfma_f32_16x16x32_fp8_fp8 v[12:15], a[158:159], a[70:71], v[12:15]// 000000007054: D3F3000C 1C328D9E
	v_fma_f32 v80, v8, v4, v80                                 // 00000000705C: D1CB0050 05420908
	v_fma_f32 v81, v9, v4, v81                                 // 000000007064: D1CB0051 05460909
	v_fma_f32 v82, v10, v4, v82                                // 00000000706C: D1CB0052 054A090A
	v_fma_f32 v83, v11, v4, v83                                // 000000007074: D1CB0053 054E090B
	v_mul_f32_dpp v6, v26, v55 row_newbcast:0 row_mask:0xf bank_mask:0xf// 00000000707C: 0A0C6EFA FF01501A
	v_mfma_f32_16x16x32_fp8_fp8 v[8:11], a[144:145], a[72:73], 0// 000000007084: D3F30008 1A029190
	v_mfma_f32_16x16x32_fp8_fp8 v[8:11], a[146:147], a[74:75], v[8:11]// 00000000708C: D3F30008 1C229592
	buffer_load_dwordx4 a[136:139], v79, s[24:27], 0 offen     // 000000007094: E05C1000 8086884F
	v_mfma_f32_16x16x32_fp8_fp8 v[8:11], a[148:149], a[76:77], v[8:11]// 00000000709C: D3F30008 1C229994
	v_mfma_f32_16x16x32_fp8_fp8 v[8:11], a[150:151], a[78:79], v[8:11]// 0000000070A4: D3F30008 1C229D96
	v_fma_f32 v112, v12, v4, v112                              // 0000000070AC: D1CB0070 05C2090C
	v_fma_f32 v113, v13, v4, v113                              // 0000000070B4: D1CB0071 05C6090D
	v_fma_f32 v114, v14, v4, v114                              // 0000000070BC: D1CB0072 05CA090E
	v_fma_f32 v115, v15, v4, v115                              // 0000000070C4: D1CB0073 05CE090F
	v_mfma_f32_16x16x32_fp8_fp8 v[12:15], a[152:153], a[72:73], 0// 0000000070CC: D3F3000C 1A029198
	v_mfma_f32_16x16x32_fp8_fp8 v[12:15], a[154:155], a[74:75], v[12:15]// 0000000070D4: D3F3000C 1C32959A
	buffer_load_dwordx4 a[140:143], v79, s[24:27], 0 offen offset:1024// 0000000070DC: E05C1400 80868C4F
	buffer_load_dword v62, s[20:23], 0 offen lds               // 0000000070E4: E0511000 8005003E
	s_add_u32 m0, 0x100, s49                                   // 0000000070EC: 807C31FF 00000100
	v_mfma_f32_16x16x32_fp8_fp8 v[12:15], a[156:157], a[76:77], v[12:15]// 0000000070F4: D3F3000C 1C32999C
	v_mfma_f32_16x16x32_fp8_fp8 v[12:15], a[158:159], a[78:79], v[12:15]// 0000000070FC: D3F3000C 1C329D9E
	buffer_load_dword v63, s[20:23], 0 offen lds               // 000000007104: E0511000 8005003F
	s_add_u32 m0, 0x200, s49                                   // 00000000710C: 807C31FF 00000200
	v_fma_f32 v84, v8, v6, v84                                 // 000000007114: D1CB0054 05520D08
	v_fma_f32 v85, v9, v6, v85                                 // 00000000711C: D1CB0055 05560D09
	v_fma_f32 v86, v10, v6, v86                                // 000000007124: D1CB0056 055A0D0A
	v_fma_f32 v87, v11, v6, v87                                // 00000000712C: D1CB0057 055E0D0B
	v_mul_f32_dpp v4, v26, v56 row_newbcast:0 row_mask:0xf bank_mask:0xf// 000000007134: 0A0870FA FF01501A
	v_mfma_f32_16x16x32_fp8_fp8 v[8:11], a[144:145], a[80:81], 0// 00000000713C: D3F30008 1A02A190
	v_mfma_f32_16x16x32_fp8_fp8 v[8:11], a[146:147], a[82:83], v[8:11]// 000000007144: D3F30008 1C22A592
	buffer_load_dword v64, s[20:23], 0 offen lds               // 00000000714C: E0511000 80050040
	s_add_u32 m0, 0x300, s49                                   // 000000007154: 807C31FF 00000300
	v_mfma_f32_16x16x32_fp8_fp8 v[8:11], a[148:149], a[84:85], v[8:11]// 00000000715C: D3F30008 1C22A994
	v_mfma_f32_16x16x32_fp8_fp8 v[8:11], a[150:151], a[86:87], v[8:11]// 000000007164: D3F30008 1C22AD96
	buffer_load_dword v65, s[20:23], 0 offen lds               // 00000000716C: E0511000 80050041
	s_add_u32 m0, 0x400, s49                                   // 000000007174: 807C31FF 00000400
	v_fma_f32 v116, v12, v6, v116                              // 00000000717C: D1CB0074 05D20D0C
	v_fma_f32 v117, v13, v6, v117                              // 000000007184: D1CB0075 05D60D0D
	v_fma_f32 v118, v14, v6, v118                              // 00000000718C: D1CB0076 05DA0D0E
	v_fma_f32 v119, v15, v6, v119                              // 000000007194: D1CB0077 05DE0D0F
	v_mfma_f32_16x16x32_fp8_fp8 v[12:15], a[152:153], a[80:81], 0// 00000000719C: D3F3000C 1A02A198
	v_mfma_f32_16x16x32_fp8_fp8 v[12:15], a[154:155], a[82:83], v[12:15]// 0000000071A4: D3F3000C 1C32A59A
	buffer_load_dword v66, s[20:23], 0 offen lds               // 0000000071AC: E0511000 80050042
	s_add_u32 m0, 0x500, s49                                   // 0000000071B4: 807C31FF 00000500
	v_mfma_f32_16x16x32_fp8_fp8 v[12:15], a[156:157], a[84:85], v[12:15]// 0000000071BC: D3F3000C 1C32A99C
	v_mfma_f32_16x16x32_fp8_fp8 v[12:15], a[158:159], a[86:87], v[12:15]// 0000000071C4: D3F3000C 1C32AD9E
	buffer_load_dword v67, s[20:23], 0 offen lds               // 0000000071CC: E0511000 80050043
	s_add_u32 m0, 0x600, s49                                   // 0000000071D4: 807C31FF 00000600
	v_fma_f32 v88, v8, v4, v88                                 // 0000000071DC: D1CB0058 05620908
	v_fma_f32 v89, v9, v4, v89                                 // 0000000071E4: D1CB0059 05660909
	v_fma_f32 v90, v10, v4, v90                                // 0000000071EC: D1CB005A 056A090A
	v_fma_f32 v91, v11, v4, v91                                // 0000000071F4: D1CB005B 056E090B
	v_mul_f32_dpp v6, v26, v57 row_newbcast:0 row_mask:0xf bank_mask:0xf// 0000000071FC: 0A0C72FA FF01501A
	v_mfma_f32_16x16x32_fp8_fp8 v[8:11], a[144:145], a[88:89], 0// 000000007204: D3F30008 1A02B190
	v_mfma_f32_16x16x32_fp8_fp8 v[8:11], a[146:147], a[90:91], v[8:11]// 00000000720C: D3F30008 1C22B592
	buffer_load_dword v68, s[20:23], 0 offen lds               // 000000007214: E0511000 80050044
	s_add_u32 m0, 0x700, s49                                   // 00000000721C: 807C31FF 00000700
	v_mfma_f32_16x16x32_fp8_fp8 v[8:11], a[148:149], a[92:93], v[8:11]// 000000007224: D3F30008 1C22B994
	v_mfma_f32_16x16x32_fp8_fp8 v[8:11], a[150:151], a[94:95], v[8:11]// 00000000722C: D3F30008 1C22BD96
	buffer_load_dword v69, s[20:23], 0 offen lds               // 000000007234: E0511000 80050045
	s_add_u32 m0, 0x800, s49                                   // 00000000723C: 807C31FF 00000800
	v_fma_f32 v120, v12, v4, v120                              // 000000007244: D1CB0078 05E2090C
	v_fma_f32 v121, v13, v4, v121                              // 00000000724C: D1CB0079 05E6090D
	v_fma_f32 v122, v14, v4, v122                              // 000000007254: D1CB007A 05EA090E
	v_fma_f32 v123, v15, v4, v123                              // 00000000725C: D1CB007B 05EE090F
	v_mfma_f32_16x16x32_fp8_fp8 v[12:15], a[152:153], a[88:89], 0// 000000007264: D3F3000C 1A02B198
	v_mfma_f32_16x16x32_fp8_fp8 v[12:15], a[154:155], a[90:91], v[12:15]// 00000000726C: D3F3000C 1C32B59A
	buffer_load_dword v70, s[20:23], 0 offen lds               // 000000007274: E0511000 80050046
	s_add_u32 m0, 0x900, s49                                   // 00000000727C: 807C31FF 00000900
	v_mfma_f32_16x16x32_fp8_fp8 v[12:15], a[156:157], a[92:93], v[12:15]// 000000007284: D3F3000C 1C32B99C
	v_mfma_f32_16x16x32_fp8_fp8 v[12:15], a[158:159], a[94:95], v[12:15]// 00000000728C: D3F3000C 1C32BD9E
	buffer_load_dword v71, s[20:23], 0 offen lds               // 000000007294: E0511000 80050047
	s_add_u32 m0, 0xa00, s49                                   // 00000000729C: 807C31FF 00000A00
	v_fma_f32 v92, v8, v6, v92                                 // 0000000072A4: D1CB005C 05720D08
	v_fma_f32 v93, v9, v6, v93                                 // 0000000072AC: D1CB005D 05760D09
	v_fma_f32 v94, v10, v6, v94                                // 0000000072B4: D1CB005E 057A0D0A
	v_fma_f32 v95, v11, v6, v95                                // 0000000072BC: D1CB005F 057E0D0B
	v_mul_f32_dpp v4, v26, v58 row_newbcast:0 row_mask:0xf bank_mask:0xf// 0000000072C4: 0A0874FA FF01501A
	v_mfma_f32_16x16x32_fp8_fp8 v[8:11], a[144:145], a[96:97], 0// 0000000072CC: D3F30008 1A02C190
	v_mfma_f32_16x16x32_fp8_fp8 v[8:11], a[146:147], a[98:99], v[8:11]// 0000000072D4: D3F30008 1C22C592
	buffer_load_dword v72, s[20:23], 0 offen lds               // 0000000072DC: E0511000 80050048
	s_add_u32 m0, 0xb00, s49                                   // 0000000072E4: 807C31FF 00000B00
	v_mfma_f32_16x16x32_fp8_fp8 v[8:11], a[148:149], a[100:101], v[8:11]// 0000000072EC: D3F30008 1C22C994
	v_mfma_f32_16x16x32_fp8_fp8 v[8:11], a[150:151], a[102:103], v[8:11]// 0000000072F4: D3F30008 1C22CD96
	buffer_load_dword v73, s[20:23], 0 offen lds               // 0000000072FC: E0511000 80050049
	s_add_u32 m0, 0xc00, s49                                   // 000000007304: 807C31FF 00000C00
	v_fma_f32 v124, v12, v6, v124                              // 00000000730C: D1CB007C 05F20D0C
	v_fma_f32 v125, v13, v6, v125                              // 000000007314: D1CB007D 05F60D0D
	v_fma_f32 v126, v14, v6, v126                              // 00000000731C: D1CB007E 05FA0D0E
	v_fma_f32 v127, v15, v6, v127                              // 000000007324: D1CB007F 05FE0D0F
	v_mfma_f32_16x16x32_fp8_fp8 v[12:15], a[152:153], a[96:97], 0// 00000000732C: D3F3000C 1A02C198
	v_mfma_f32_16x16x32_fp8_fp8 v[12:15], a[154:155], a[98:99], v[12:15]// 000000007334: D3F3000C 1C32C59A
	buffer_load_dword v74, s[20:23], 0 offen lds               // 00000000733C: E0511000 8005004A
	s_add_u32 m0, 0xd00, s49                                   // 000000007344: 807C31FF 00000D00
	v_mfma_f32_16x16x32_fp8_fp8 v[12:15], a[156:157], a[100:101], v[12:15]// 00000000734C: D3F3000C 1C32C99C
	v_mfma_f32_16x16x32_fp8_fp8 v[12:15], a[158:159], a[102:103], v[12:15]// 000000007354: D3F3000C 1C32CD9E
	buffer_load_dword v75, s[20:23], 0 offen lds               // 00000000735C: E0511000 8005004B
	s_add_u32 m0, 0xe00, s49                                   // 000000007364: 807C31FF 00000E00
	v_fma_f32 v96, v8, v4, v96                                 // 00000000736C: D1CB0060 05820908
	v_fma_f32 v97, v9, v4, v97                                 // 000000007374: D1CB0061 05860909
	v_fma_f32 v98, v10, v4, v98                                // 00000000737C: D1CB0062 058A090A
	v_fma_f32 v99, v11, v4, v99                                // 000000007384: D1CB0063 058E090B
	v_mul_f32_dpp v6, v26, v59 row_newbcast:0 row_mask:0xf bank_mask:0xf// 00000000738C: 0A0C76FA FF01501A
	v_mfma_f32_16x16x32_fp8_fp8 v[8:11], a[144:145], a[104:105], 0// 000000007394: D3F30008 1A02D190
	v_mfma_f32_16x16x32_fp8_fp8 v[8:11], a[146:147], a[106:107], v[8:11]// 00000000739C: D3F30008 1C22D592
	buffer_load_dword v76, s[20:23], 0 offen lds               // 0000000073A4: E0511000 8005004C
	s_add_u32 m0, 0xf00, s49                                   // 0000000073AC: 807C31FF 00000F00
	v_mfma_f32_16x16x32_fp8_fp8 v[8:11], a[148:149], a[108:109], v[8:11]// 0000000073B4: D3F30008 1C22D994
	v_mfma_f32_16x16x32_fp8_fp8 v[8:11], a[150:151], a[110:111], v[8:11]// 0000000073BC: D3F30008 1C22DD96
	buffer_load_dword v77, s[20:23], 0 offen lds               // 0000000073C4: E0511000 8005004D
	s_add_u32 m0, 0, s50                                       // 0000000073CC: 807C3280
	v_fma_f32 v128, v12, v4, v128                              // 0000000073D0: D1CB0080 0602090C
	v_fma_f32 v129, v13, v4, v129                              // 0000000073D8: D1CB0081 0606090D
	v_fma_f32 v130, v14, v4, v130                              // 0000000073E0: D1CB0082 060A090E
	v_fma_f32 v131, v15, v4, v131                              // 0000000073E8: D1CB0083 060E090F
	v_mfma_f32_16x16x32_fp8_fp8 v[12:15], a[152:153], a[104:105], 0// 0000000073F0: D3F3000C 1A02D198
	v_mfma_f32_16x16x32_fp8_fp8 v[12:15], a[154:155], a[106:107], v[12:15]// 0000000073F8: D3F3000C 1C32D59A
	buffer_load_dword v46, v30, s[28:31], 0 offen              // 000000007400: E0501000 80072E1E
	v_mfma_f32_16x16x32_fp8_fp8 v[12:15], a[156:157], a[108:109], v[12:15]// 000000007408: D3F3000C 1C32D99C
	v_mfma_f32_16x16x32_fp8_fp8 v[12:15], a[158:159], a[110:111], v[12:15]// 000000007410: D3F3000C 1C32DD9E
	buffer_load_dword v47, v31, s[28:31], 0 offen              // 000000007418: E0501000 80072F1F
	v_fma_f32 v100, v8, v6, v100                               // 000000007420: D1CB0064 05920D08
	v_fma_f32 v101, v9, v6, v101                               // 000000007428: D1CB0065 05960D09
	v_fma_f32 v102, v10, v6, v102                              // 000000007430: D1CB0066 059A0D0A
	v_fma_f32 v103, v11, v6, v103                              // 000000007438: D1CB0067 059E0D0B
	v_mul_f32_dpp v4, v26, v60 row_newbcast:0 row_mask:0xf bank_mask:0xf// 000000007440: 0A0878FA FF01501A
	v_mfma_f32_16x16x32_fp8_fp8 v[8:11], a[144:145], a[112:113], 0// 000000007448: D3F30008 1A02E190
	v_mfma_f32_16x16x32_fp8_fp8 v[8:11], a[146:147], a[114:115], v[8:11]// 000000007450: D3F30008 1C22E592
	buffer_load_dword v48, v32, s[28:31], 0 offen              // 000000007458: E0501000 80073020
	v_mfma_f32_16x16x32_fp8_fp8 v[8:11], a[148:149], a[116:117], v[8:11]// 000000007460: D3F30008 1C22E994
	v_mfma_f32_16x16x32_fp8_fp8 v[8:11], a[150:151], a[118:119], v[8:11]// 000000007468: D3F30008 1C22ED96
	buffer_load_dword v49, v33, s[28:31], 0 offen              // 000000007470: E0501000 80073121
	v_fma_f32 v132, v12, v6, v132                              // 000000007478: D1CB0084 06120D0C
	v_fma_f32 v133, v13, v6, v133                              // 000000007480: D1CB0085 06160D0D
	v_fma_f32 v134, v14, v6, v134                              // 000000007488: D1CB0086 061A0D0E
	v_fma_f32 v135, v15, v6, v135                              // 000000007490: D1CB0087 061E0D0F
	v_mfma_f32_16x16x32_fp8_fp8 v[12:15], a[152:153], a[112:113], 0// 000000007498: D3F3000C 1A02E198
	v_mfma_f32_16x16x32_fp8_fp8 v[12:15], a[154:155], a[114:115], v[12:15]// 0000000074A0: D3F3000C 1C32E59A
	buffer_load_dword v50, v34, s[28:31], 0 offen              // 0000000074A8: E0501000 80073222
	v_mfma_f32_16x16x32_fp8_fp8 v[12:15], a[156:157], a[116:117], v[12:15]// 0000000074B0: D3F3000C 1C32E99C
	v_mfma_f32_16x16x32_fp8_fp8 v[12:15], a[158:159], a[118:119], v[12:15]// 0000000074B8: D3F3000C 1C32ED9E
	buffer_load_dword v51, v35, s[28:31], 0 offen              // 0000000074C0: E0501000 80073323
	v_fma_f32 v104, v8, v4, v104                               // 0000000074C8: D1CB0068 05A20908
	v_fma_f32 v105, v9, v4, v105                               // 0000000074D0: D1CB0069 05A60909
	v_fma_f32 v106, v10, v4, v106                              // 0000000074D8: D1CB006A 05AA090A
	v_fma_f32 v107, v11, v4, v107                              // 0000000074E0: D1CB006B 05AE090B
	v_mul_f32_dpp v6, v26, v61 row_newbcast:0 row_mask:0xf bank_mask:0xf// 0000000074E8: 0A0C7AFA FF01501A
	v_mfma_f32_16x16x32_fp8_fp8 v[8:11], a[144:145], a[120:121], 0// 0000000074F0: D3F30008 1A02F190
	v_mfma_f32_16x16x32_fp8_fp8 v[8:11], a[146:147], a[122:123], v[8:11]// 0000000074F8: D3F30008 1C22F592
	buffer_load_dword v52, v36, s[28:31], 0 offen              // 000000007500: E0501000 80073424
	v_mfma_f32_16x16x32_fp8_fp8 v[8:11], a[148:149], a[124:125], v[8:11]// 000000007508: D3F30008 1C22F994
	v_mfma_f32_16x16x32_fp8_fp8 v[8:11], a[150:151], a[126:127], v[8:11]// 000000007510: D3F30008 1C22FD96
	buffer_load_dword v53, v37, s[28:31], 0 offen              // 000000007518: E0501000 80073525
	v_fma_f32 v136, v12, v4, v136                              // 000000007520: D1CB0088 0622090C
	v_fma_f32 v137, v13, v4, v137                              // 000000007528: D1CB0089 0626090D
	v_fma_f32 v138, v14, v4, v138                              // 000000007530: D1CB008A 062A090E
	v_fma_f32 v139, v15, v4, v139                              // 000000007538: D1CB008B 062E090F
	v_mfma_f32_16x16x32_fp8_fp8 v[12:15], a[152:153], a[120:121], 0// 000000007540: D3F3000C 1A02F198
	v_mfma_f32_16x16x32_fp8_fp8 v[12:15], a[154:155], a[122:123], v[12:15]// 000000007548: D3F3000C 1C32F59A
	v_mfma_f32_16x16x32_fp8_fp8 v[12:15], a[156:157], a[124:125], v[12:15]// 000000007550: D3F3000C 1C32F99C
	v_mfma_f32_16x16x32_fp8_fp8 v[12:15], a[158:159], a[126:127], v[12:15]// 000000007558: D3F3000C 1C32FD9E
	v_fma_f32 v108, v8, v6, v108                               // 000000007560: D1CB006C 05B20D08
	v_fma_f32 v109, v9, v6, v109                               // 000000007568: D1CB006D 05B60D09
	v_fma_f32 v110, v10, v6, v110                              // 000000007570: D1CB006E 05BA0D0A
	v_fma_f32 v111, v11, v6, v111                              // 000000007578: D1CB006F 05BE0D0B
	v_fma_f32 v140, v12, v6, v140                              // 000000007580: D1CB008C 06320D0C
	v_fma_f32 v141, v13, v6, v141                              // 000000007588: D1CB008D 06360D0D
	v_fma_f32 v142, v14, v6, v142                              // 000000007590: D1CB008E 063A0D0E
	v_fma_f32 v143, v15, v6, v143                              // 000000007598: D1CB008F 063E0D0F
	s_waitcnt vmcnt(29)                                        // 0000000075A0: BF8C4F7D
	s_barrier                                                  // 0000000075A4: BF8A0000
	v_mul_f32_dpp v4, v29, v54 row_newbcast:0 row_mask:0xf bank_mask:0xf// 0000000075A8: 0A086CFA FF01501D
	v_mfma_f32_16x16x32_fp8_fp8 v[8:11], a[160:161], a[64:65], 0// 0000000075B0: D3F30008 1A0281A0
	buffer_load_dword v27, v23, s[32:35], 0 offen              // 0000000075B8: E0501000 80081B17
	v_mfma_f32_16x16x32_fp8_fp8 v[8:11], a[162:163], a[66:67], v[8:11]// 0000000075C0: D3F30008 1C2285A2
	buffer_load_dwordx4 a[144:147], v78, s[84:87], 0 offen     // 0000000075C8: E05C1000 8095904E
	v_mfma_f32_16x16x32_fp8_fp8 v[8:11], a[164:165], a[68:69], v[8:11]// 0000000075D0: D3F30008 1C2289A4
	v_mfma_f32_16x16x32_fp8_fp8 v[8:11], a[166:167], a[70:71], v[8:11]// 0000000075D8: D3F30008 1C228DA6
	ds_read_b128 a[0:3], v2                                    // 0000000075E0: DBFE0000 00000002
	ds_read_b128 a[4:7], v2 offset:64                          // 0000000075E8: DBFE0040 04000002
	v_mfma_f32_16x16x32_fp8_fp8 v[12:15], a[168:169], a[64:65], 0// 0000000075F0: D3F3000C 1A0281A8
	v_mfma_f32_16x16x32_fp8_fp8 v[12:15], a[170:171], a[66:67], v[12:15]// 0000000075F8: D3F3000C 1C3285AA
	buffer_load_dwordx4 a[148:151], v78, s[84:87], 0 offen offset:1024// 000000007600: E05C1400 8095944E
	v_mfma_f32_16x16x32_fp8_fp8 v[12:15], a[172:173], a[68:69], v[12:15]// 000000007608: D3F3000C 1C3289AC
	v_mfma_f32_16x16x32_fp8_fp8 v[12:15], a[174:175], a[70:71], v[12:15]// 000000007610: D3F3000C 1C328DAE
	ds_read_b128 a[8:11], v2 offset:512                        // 000000007618: DBFE0200 08000002
	ds_read_b128 a[12:15], v2 offset:576                       // 000000007620: DBFE0240 0C000002
	v_fma_f32 v144, v8, v4, v144                               // 000000007628: D1CB0090 06420908
	v_fma_f32 v145, v9, v4, v145                               // 000000007630: D1CB0091 06460909
	v_fma_f32 v146, v10, v4, v146                              // 000000007638: D1CB0092 064A090A
	v_fma_f32 v147, v11, v4, v147                              // 000000007640: D1CB0093 064E090B
	v_mul_f32_dpp v6, v29, v55 row_newbcast:0 row_mask:0xf bank_mask:0xf// 000000007648: 0A0C6EFA FF01501D
	v_mfma_f32_16x16x32_fp8_fp8 v[8:11], a[160:161], a[72:73], 0// 000000007650: D3F30008 1A0291A0
	v_mfma_f32_16x16x32_fp8_fp8 v[8:11], a[162:163], a[74:75], v[8:11]// 000000007658: D3F30008 1C2295A2
	buffer_load_dwordx4 a[152:155], v79, s[84:87], 0 offen     // 000000007660: E05C1000 8095984F
	v_mfma_f32_16x16x32_fp8_fp8 v[8:11], a[164:165], a[76:77], v[8:11]// 000000007668: D3F30008 1C2299A4
	v_mfma_f32_16x16x32_fp8_fp8 v[8:11], a[166:167], a[78:79], v[8:11]// 000000007670: D3F30008 1C229DA6
	ds_read_b128 a[16:19], v2 offset:1024                      // 000000007678: DBFE0400 10000002
	ds_read_b128 a[20:23], v2 offset:1088                      // 000000007680: DBFE0440 14000002
	v_fma_f32 v176, v12, v4, v176                              // 000000007688: D1CB00B0 06C2090C
	v_fma_f32 v177, v13, v4, v177                              // 000000007690: D1CB00B1 06C6090D
	v_fma_f32 v178, v14, v4, v178                              // 000000007698: D1CB00B2 06CA090E
	v_fma_f32 v179, v15, v4, v179                              // 0000000076A0: D1CB00B3 06CE090F
	v_mfma_f32_16x16x32_fp8_fp8 v[12:15], a[168:169], a[72:73], 0// 0000000076A8: D3F3000C 1A0291A8
	v_mfma_f32_16x16x32_fp8_fp8 v[12:15], a[170:171], a[74:75], v[12:15]// 0000000076B0: D3F3000C 1C3295AA
	buffer_load_dwordx4 a[156:159], v79, s[84:87], 0 offen offset:1024// 0000000076B8: E05C1400 80959C4F
	v_mfma_f32_16x16x32_fp8_fp8 v[12:15], a[172:173], a[76:77], v[12:15]// 0000000076C0: D3F3000C 1C3299AC
	v_mfma_f32_16x16x32_fp8_fp8 v[12:15], a[174:175], a[78:79], v[12:15]// 0000000076C8: D3F3000C 1C329DAE
	ds_read_b128 a[24:27], v2 offset:1536                      // 0000000076D0: DBFE0600 18000002
	ds_read_b128 a[28:31], v2 offset:1600                      // 0000000076D8: DBFE0640 1C000002
	v_fma_f32 v148, v8, v6, v148                               // 0000000076E0: D1CB0094 06520D08
	v_fma_f32 v149, v9, v6, v149                               // 0000000076E8: D1CB0095 06560D09
	v_fma_f32 v150, v10, v6, v150                              // 0000000076F0: D1CB0096 065A0D0A
	v_fma_f32 v151, v11, v6, v151                              // 0000000076F8: D1CB0097 065E0D0B
	v_mul_f32_dpp v4, v29, v56 row_newbcast:0 row_mask:0xf bank_mask:0xf// 000000007700: 0A0870FA FF01501D
	v_mfma_f32_16x16x32_fp8_fp8 v[8:11], a[160:161], a[80:81], 0// 000000007708: D3F30008 1A02A1A0
	v_mfma_f32_16x16x32_fp8_fp8 v[8:11], a[162:163], a[82:83], v[8:11]// 000000007710: D3F30008 1C22A5A2
	v_mfma_f32_16x16x32_fp8_fp8 v[8:11], a[164:165], a[84:85], v[8:11]// 000000007718: D3F30008 1C22A9A4
	v_mfma_f32_16x16x32_fp8_fp8 v[8:11], a[166:167], a[86:87], v[8:11]// 000000007720: D3F30008 1C22ADA6
	ds_read_b128 a[32:35], v2 offset:2048                      // 000000007728: DBFE0800 20000002
	ds_read_b128 a[36:39], v2 offset:2112                      // 000000007730: DBFE0840 24000002
	v_fma_f32 v180, v12, v6, v180                              // 000000007738: D1CB00B4 06D20D0C
	v_fma_f32 v181, v13, v6, v181                              // 000000007740: D1CB00B5 06D60D0D
	v_fma_f32 v182, v14, v6, v182                              // 000000007748: D1CB00B6 06DA0D0E
	v_fma_f32 v183, v15, v6, v183                              // 000000007750: D1CB00B7 06DE0D0F
	v_mfma_f32_16x16x32_fp8_fp8 v[12:15], a[168:169], a[80:81], 0// 000000007758: D3F3000C 1A02A1A8
	v_mfma_f32_16x16x32_fp8_fp8 v[12:15], a[170:171], a[82:83], v[12:15]// 000000007760: D3F3000C 1C32A5AA
	v_mfma_f32_16x16x32_fp8_fp8 v[12:15], a[172:173], a[84:85], v[12:15]// 000000007768: D3F3000C 1C32A9AC
	v_mfma_f32_16x16x32_fp8_fp8 v[12:15], a[174:175], a[86:87], v[12:15]// 000000007770: D3F3000C 1C32ADAE
	ds_read_b128 a[40:43], v2 offset:2560                      // 000000007778: DBFE0A00 28000002
	ds_read_b128 a[44:47], v2 offset:2624                      // 000000007780: DBFE0A40 2C000002
	v_fma_f32 v152, v8, v4, v152                               // 000000007788: D1CB0098 06620908
	v_fma_f32 v153, v9, v4, v153                               // 000000007790: D1CB0099 06660909
	v_fma_f32 v154, v10, v4, v154                              // 000000007798: D1CB009A 066A090A
	v_fma_f32 v155, v11, v4, v155                              // 0000000077A0: D1CB009B 066E090B
	v_mul_f32_dpp v6, v29, v57 row_newbcast:0 row_mask:0xf bank_mask:0xf// 0000000077A8: 0A0C72FA FF01501D
	v_mfma_f32_16x16x32_fp8_fp8 v[8:11], a[160:161], a[88:89], 0// 0000000077B0: D3F30008 1A02B1A0
	v_mfma_f32_16x16x32_fp8_fp8 v[8:11], a[162:163], a[90:91], v[8:11]// 0000000077B8: D3F30008 1C22B5A2
	v_mfma_f32_16x16x32_fp8_fp8 v[8:11], a[164:165], a[92:93], v[8:11]// 0000000077C0: D3F30008 1C22B9A4
	v_mfma_f32_16x16x32_fp8_fp8 v[8:11], a[166:167], a[94:95], v[8:11]// 0000000077C8: D3F30008 1C22BDA6
	ds_read_b128 a[48:51], v2 offset:3072                      // 0000000077D0: DBFE0C00 30000002
	ds_read_b128 a[52:55], v2 offset:3136                      // 0000000077D8: DBFE0C40 34000002
	v_fma_f32 v184, v12, v4, v184                              // 0000000077E0: D1CB00B8 06E2090C
	v_fma_f32 v185, v13, v4, v185                              // 0000000077E8: D1CB00B9 06E6090D
	v_fma_f32 v186, v14, v4, v186                              // 0000000077F0: D1CB00BA 06EA090E
	v_fma_f32 v187, v15, v4, v187                              // 0000000077F8: D1CB00BB 06EE090F
	v_mfma_f32_16x16x32_fp8_fp8 v[12:15], a[168:169], a[88:89], 0// 000000007800: D3F3000C 1A02B1A8
	v_mfma_f32_16x16x32_fp8_fp8 v[12:15], a[170:171], a[90:91], v[12:15]// 000000007808: D3F3000C 1C32B5AA
	v_mfma_f32_16x16x32_fp8_fp8 v[12:15], a[172:173], a[92:93], v[12:15]// 000000007810: D3F3000C 1C32B9AC
	v_mfma_f32_16x16x32_fp8_fp8 v[12:15], a[174:175], a[94:95], v[12:15]// 000000007818: D3F3000C 1C32BDAE
	ds_read_b128 a[56:59], v2 offset:3584                      // 000000007820: DBFE0E00 38000002
	ds_read_b128 a[60:63], v2 offset:3648                      // 000000007828: DBFE0E40 3C000002
	v_fma_f32 v156, v8, v6, v156                               // 000000007830: D1CB009C 06720D08
	v_fma_f32 v157, v9, v6, v157                               // 000000007838: D1CB009D 06760D09
	v_fma_f32 v158, v10, v6, v158                              // 000000007840: D1CB009E 067A0D0A
	v_fma_f32 v159, v11, v6, v159                              // 000000007848: D1CB009F 067E0D0B
	v_mul_f32_dpp v4, v29, v58 row_newbcast:0 row_mask:0xf bank_mask:0xf// 000000007850: 0A0874FA FF01501D
	v_mfma_f32_16x16x32_fp8_fp8 v[8:11], a[160:161], a[96:97], 0// 000000007858: D3F30008 1A02C1A0
	v_mfma_f32_16x16x32_fp8_fp8 v[8:11], a[162:163], a[98:99], v[8:11]// 000000007860: D3F30008 1C22C5A2
	v_mfma_f32_16x16x32_fp8_fp8 v[8:11], a[164:165], a[100:101], v[8:11]// 000000007868: D3F30008 1C22C9A4
	v_mfma_f32_16x16x32_fp8_fp8 v[8:11], a[166:167], a[102:103], v[8:11]// 000000007870: D3F30008 1C22CDA6
	v_fma_f32 v188, v12, v6, v188                              // 000000007878: D1CB00BC 06F20D0C
	v_fma_f32 v189, v13, v6, v189                              // 000000007880: D1CB00BD 06F60D0D
	v_fma_f32 v190, v14, v6, v190                              // 000000007888: D1CB00BE 06FA0D0E
	v_fma_f32 v191, v15, v6, v191                              // 000000007890: D1CB00BF 06FE0D0F
	v_mfma_f32_16x16x32_fp8_fp8 v[12:15], a[168:169], a[96:97], 0// 000000007898: D3F3000C 1A02C1A8
	v_mfma_f32_16x16x32_fp8_fp8 v[12:15], a[170:171], a[98:99], v[12:15]// 0000000078A0: D3F3000C 1C32C5AA
	v_mfma_f32_16x16x32_fp8_fp8 v[12:15], a[172:173], a[100:101], v[12:15]// 0000000078A8: D3F3000C 1C32C9AC
	v_mfma_f32_16x16x32_fp8_fp8 v[12:15], a[174:175], a[102:103], v[12:15]// 0000000078B0: D3F3000C 1C32CDAE
	v_fma_f32 v160, v8, v4, v160                               // 0000000078B8: D1CB00A0 06820908
	v_fma_f32 v161, v9, v4, v161                               // 0000000078C0: D1CB00A1 06860909
	v_fma_f32 v162, v10, v4, v162                              // 0000000078C8: D1CB00A2 068A090A
	v_fma_f32 v163, v11, v4, v163                              // 0000000078D0: D1CB00A3 068E090B
	v_mul_f32_dpp v6, v29, v59 row_newbcast:0 row_mask:0xf bank_mask:0xf// 0000000078D8: 0A0C76FA FF01501D
	v_mfma_f32_16x16x32_fp8_fp8 v[8:11], a[160:161], a[104:105], 0// 0000000078E0: D3F30008 1A02D1A0
	v_mfma_f32_16x16x32_fp8_fp8 v[8:11], a[162:163], a[106:107], v[8:11]// 0000000078E8: D3F30008 1C22D5A2
	v_mfma_f32_16x16x32_fp8_fp8 v[8:11], a[164:165], a[108:109], v[8:11]// 0000000078F0: D3F30008 1C22D9A4
	v_mfma_f32_16x16x32_fp8_fp8 v[8:11], a[166:167], a[110:111], v[8:11]// 0000000078F8: D3F30008 1C22DDA6
	v_fma_f32 v192, v12, v4, v192                              // 000000007900: D1CB00C0 0702090C
	v_fma_f32 v193, v13, v4, v193                              // 000000007908: D1CB00C1 0706090D
	v_fma_f32 v194, v14, v4, v194                              // 000000007910: D1CB00C2 070A090E
	v_fma_f32 v195, v15, v4, v195                              // 000000007918: D1CB00C3 070E090F
	v_mfma_f32_16x16x32_fp8_fp8 v[12:15], a[168:169], a[104:105], 0// 000000007920: D3F3000C 1A02D1A8
	v_mfma_f32_16x16x32_fp8_fp8 v[12:15], a[170:171], a[106:107], v[12:15]// 000000007928: D3F3000C 1C32D5AA
	v_mfma_f32_16x16x32_fp8_fp8 v[12:15], a[172:173], a[108:109], v[12:15]// 000000007930: D3F3000C 1C32D9AC
	v_mfma_f32_16x16x32_fp8_fp8 v[12:15], a[174:175], a[110:111], v[12:15]// 000000007938: D3F3000C 1C32DDAE
	v_fma_f32 v164, v8, v6, v164                               // 000000007940: D1CB00A4 06920D08
	v_fma_f32 v165, v9, v6, v165                               // 000000007948: D1CB00A5 06960D09
	v_fma_f32 v166, v10, v6, v166                              // 000000007950: D1CB00A6 069A0D0A
	v_fma_f32 v167, v11, v6, v167                              // 000000007958: D1CB00A7 069E0D0B
	v_mul_f32_dpp v4, v29, v60 row_newbcast:0 row_mask:0xf bank_mask:0xf// 000000007960: 0A0878FA FF01501D
	v_mfma_f32_16x16x32_fp8_fp8 v[8:11], a[160:161], a[112:113], 0// 000000007968: D3F30008 1A02E1A0
	v_mfma_f32_16x16x32_fp8_fp8 v[8:11], a[162:163], a[114:115], v[8:11]// 000000007970: D3F30008 1C22E5A2
	v_mfma_f32_16x16x32_fp8_fp8 v[8:11], a[164:165], a[116:117], v[8:11]// 000000007978: D3F30008 1C22E9A4
	v_mfma_f32_16x16x32_fp8_fp8 v[8:11], a[166:167], a[118:119], v[8:11]// 000000007980: D3F30008 1C22EDA6
	v_fma_f32 v196, v12, v6, v196                              // 000000007988: D1CB00C4 07120D0C
	v_fma_f32 v197, v13, v6, v197                              // 000000007990: D1CB00C5 07160D0D
	v_fma_f32 v198, v14, v6, v198                              // 000000007998: D1CB00C6 071A0D0E
	v_fma_f32 v199, v15, v6, v199                              // 0000000079A0: D1CB00C7 071E0D0F
	v_mfma_f32_16x16x32_fp8_fp8 v[12:15], a[168:169], a[112:113], 0// 0000000079A8: D3F3000C 1A02E1A8
	v_mfma_f32_16x16x32_fp8_fp8 v[12:15], a[170:171], a[114:115], v[12:15]// 0000000079B0: D3F3000C 1C32E5AA
	v_mfma_f32_16x16x32_fp8_fp8 v[12:15], a[172:173], a[116:117], v[12:15]// 0000000079B8: D3F3000C 1C32E9AC
	v_mfma_f32_16x16x32_fp8_fp8 v[12:15], a[174:175], a[118:119], v[12:15]// 0000000079C0: D3F3000C 1C32EDAE
	v_fma_f32 v168, v8, v4, v168                               // 0000000079C8: D1CB00A8 06A20908
	v_fma_f32 v169, v9, v4, v169                               // 0000000079D0: D1CB00A9 06A60909
	v_fma_f32 v170, v10, v4, v170                              // 0000000079D8: D1CB00AA 06AA090A
	v_fma_f32 v171, v11, v4, v171                              // 0000000079E0: D1CB00AB 06AE090B
	v_mul_f32_dpp v6, v29, v61 row_newbcast:0 row_mask:0xf bank_mask:0xf// 0000000079E8: 0A0C7AFA FF01501D
	v_mfma_f32_16x16x32_fp8_fp8 v[8:11], a[160:161], a[120:121], 0// 0000000079F0: D3F30008 1A02F1A0
	s_add_u32 s60, 0x180, s80                                  // 0000000079F8: 803C50FF 00000180
	s_cmp_lt_u32 s60, s81                                      // 000000007A00: BF0A513C
	s_cselect_b32 s57, s57, 0                                  // 000000007A04: 85398039
	s_cselect_b32 s3, s3, 0                                    // 000000007A08: 85038003
	v_mfma_f32_16x16x32_fp8_fp8 v[8:11], a[162:163], a[122:123], v[8:11]// 000000007A0C: D3F30008 1C22F5A2
	s_add_u32 s60, 0x100, s80                                  // 000000007A14: 803C50FF 00000100
	s_cmp_lt_u32 s60, s81                                      // 000000007A1C: BF0A513C
	s_cselect_b32 s58, s58, 0                                  // 000000007A20: 853A803A
	v_mfma_f32_16x16x32_fp8_fp8 v[8:11], a[164:165], a[124:125], v[8:11]// 000000007A24: D3F30008 1C22F9A4
	s_add_u32 s60, 0x100, s80                                  // 000000007A2C: 803C50FF 00000100
	s_cmp_lt_u32 s60, s81                                      // 000000007A34: BF0A513C
	s_cselect_b32 s83, s83, 0                                  // 000000007A38: 85538053
	s_cselect_b32 s4, s4, 0                                    // 000000007A3C: 85048004
	v_mfma_f32_16x16x32_fp8_fp8 v[8:11], a[166:167], a[126:127], v[8:11]// 000000007A40: D3F30008 1C22FDA6
	s_add_u32 s24, s58, s24                                    // 000000007A48: 8018183A
	s_addc_u32 s25, 0, s25                                     // 000000007A4C: 82191980
	v_fma_f32 v200, v12, v4, v200                              // 000000007A50: D1CB00C8 0722090C
	v_fma_f32 v201, v13, v4, v201                              // 000000007A58: D1CB00C9 0726090D
	v_fma_f32 v202, v14, v4, v202                              // 000000007A60: D1CB00CA 072A090E
	v_fma_f32 v203, v15, v4, v203                              // 000000007A68: D1CB00CB 072E090F
	v_mfma_f32_16x16x32_fp8_fp8 v[12:15], a[168:169], a[120:121], 0// 000000007A70: D3F3000C 1A02F1A8
	s_add_u32 s20, s57, s20                                    // 000000007A78: 80141439
	s_addc_u32 s21, 0, s21                                     // 000000007A7C: 82151580
	s_add_u32 s28, s3, s28                                     // 000000007A80: 801C1C03
	s_addc_u32 s29, 0, s29                                     // 000000007A84: 821D1D80
	v_mfma_f32_16x16x32_fp8_fp8 v[12:15], a[170:171], a[122:123], v[12:15]// 000000007A88: D3F3000C 1C32F5AA
	s_add_u32 s84, s83, s84                                    // 000000007A90: 80545453
	s_addc_u32 s85, 0, s85                                     // 000000007A94: 82555580
	v_mfma_f32_16x16x32_fp8_fp8 v[12:15], a[172:173], a[124:125], v[12:15]// 000000007A98: D3F3000C 1C32F9AC
	s_add_u32 s32, s4, s32                                     // 000000007AA0: 80202004
	s_addc_u32 s33, 0, s33                                     // 000000007AA4: 82212180
	v_mfma_f32_16x16x32_fp8_fp8 v[12:15], a[174:175], a[126:127], v[12:15]// 000000007AA8: D3F3000C 1C32FDAE
	v_fma_f32 v172, v8, v6, v172                               // 000000007AB0: D1CB00AC 06B20D08
	v_fma_f32 v173, v9, v6, v173                               // 000000007AB8: D1CB00AD 06B60D09
	v_fma_f32 v174, v10, v6, v174                              // 000000007AC0: D1CB00AE 06BA0D0A
	v_fma_f32 v175, v11, v6, v175                              // 000000007AC8: D1CB00AF 06BE0D0B
	v_fma_f32 v204, v12, v6, v204                              // 000000007AD0: D1CB00CC 07320D0C
	v_fma_f32 v205, v13, v6, v205                              // 000000007AD8: D1CB00CD 07360D0D
	v_fma_f32 v206, v14, v6, v206                              // 000000007AE0: D1CB00CE 073A0D0E
	v_fma_f32 v207, v15, v6, v207                              // 000000007AE8: D1CB00CF 073E0D0F
	s_addk_i32 s80, 0x80                                       // 000000007AF0: B7500080
	s_cmp_lt_i32 s80, s81                                      // 000000007AF4: BF045150
	s_cbranch_scc0 label_1440                                  // 000000007AF8: BF840001
	s_branch label_03B9                                        // 000000007AFC: BF82EF79

0000000000007b00 <label_1440>:
	s_cmp_eq_u32 s88, 0                                        // 000000007B00: BF068058
	s_cbranch_scc0 label_1EF5                                  // 000000007B04: BF840AB3
	s_cmp_eq_u32 s89, 0                                        // 000000007B08: BF068059
	s_cbranch_scc1 label_16C9                                  // 000000007B0C: BF850285
	v_mov_b32_e32 v8, v1                                       // 000000007B10: 7E100301
	v_mov_b32_e32 v9, v1                                       // 000000007B14: 7E120301
	s_mov_b32 s60, s6                                          // 000000007B18: BEBC0006
	s_mov_b32 s61, s6                                          // 000000007B1C: BEBD0006
	v_pk_mul_f32 v[4:5], v[80:81], v[80:81]                    // 000000007B20: D3B14004 1802A150
	v_pk_mul_f32 v[6:7], v[82:83], v[82:83]                    // 000000007B28: D3B14006 1802A552
	v_pk_fma_f32 v[4:5], v[4:5], s[78:79], v[8:9]              // 000000007B30: D3B04004 1C209D04
	v_pk_fma_f32 v[6:7], v[6:7], s[78:79], v[8:9]              // 000000007B38: D3B04006 1C209D06
	v_pk_mul_f32 v[4:5], v[4:5], v[80:81]                      // 000000007B40: D3B14004 1802A104
	v_pk_mul_f32 v[6:7], v[6:7], v[82:83]                      // 000000007B48: D3B14006 1802A506
	v_pk_mul_f32 v[4:5], v[4:5], s[60:61]                      // 000000007B50: D3B14004 18007904
	v_pk_mul_f32 v[6:7], v[6:7], s[60:61]                      // 000000007B58: D3B14006 18007906
	v_exp_f32_e32 v4, v4                                       // 000000007B60: 7E084104
	v_exp_f32_e32 v5, v5                                       // 000000007B64: 7E0A4105
	v_exp_f32_e32 v6, v6                                       // 000000007B68: 7E0C4106
	v_exp_f32_e32 v7, v7                                       // 000000007B6C: 7E0E4107
	v_add_f32_e64 v4, v4, 1.0                                  // 000000007B70: D1010004 0001E504
	v_add_f32_e64 v5, v5, 1.0                                  // 000000007B78: D1010005 0001E505
	v_add_f32_e64 v6, v6, 1.0                                  // 000000007B80: D1010006 0001E506
	v_add_f32_e64 v7, v7, 1.0                                  // 000000007B88: D1010007 0001E507
	v_rcp_f32_e32 v4, v4                                       // 000000007B90: 7E084504
	v_rcp_f32_e32 v5, v5                                       // 000000007B94: 7E0A4505
	v_rcp_f32_e32 v6, v6                                       // 000000007B98: 7E0C4506
	v_rcp_f32_e32 v7, v7                                       // 000000007B9C: 7E0E4507
	v_mul_f32_e32 v80, v80, v4                                 // 000000007BA0: 0AA00950
	v_mul_f32_e32 v81, v81, v5                                 // 000000007BA4: 0AA20B51
	v_mul_f32_e32 v82, v82, v6                                 // 000000007BA8: 0AA40D52
	v_mul_f32_e32 v83, v83, v7                                 // 000000007BAC: 0AA60F53
	v_mul_f32_e32 v80, v80, v144                               // 000000007BB0: 0AA12150
	v_mul_f32_e32 v81, v81, v145                               // 000000007BB4: 0AA32351
	v_mul_f32_e32 v82, v82, v146                               // 000000007BB8: 0AA52552
	v_mul_f32_e32 v83, v83, v147                               // 000000007BBC: 0AA72753
	v_pk_mul_f32 v[4:5], v[84:85], v[84:85]                    // 000000007BC0: D3B14004 1802A954
	v_pk_mul_f32 v[6:7], v[86:87], v[86:87]                    // 000000007BC8: D3B14006 1802AD56
	v_pk_fma_f32 v[4:5], v[4:5], s[78:79], v[8:9]              // 000000007BD0: D3B04004 1C209D04
	v_pk_fma_f32 v[6:7], v[6:7], s[78:79], v[8:9]              // 000000007BD8: D3B04006 1C209D06
	v_pk_mul_f32 v[4:5], v[4:5], v[84:85]                      // 000000007BE0: D3B14004 1802A904
	v_pk_mul_f32 v[6:7], v[6:7], v[86:87]                      // 000000007BE8: D3B14006 1802AD06
	v_pk_mul_f32 v[4:5], v[4:5], s[60:61]                      // 000000007BF0: D3B14004 18007904
	v_pk_mul_f32 v[6:7], v[6:7], s[60:61]                      // 000000007BF8: D3B14006 18007906
	v_exp_f32_e32 v4, v4                                       // 000000007C00: 7E084104
	v_exp_f32_e32 v5, v5                                       // 000000007C04: 7E0A4105
	v_exp_f32_e32 v6, v6                                       // 000000007C08: 7E0C4106
	v_exp_f32_e32 v7, v7                                       // 000000007C0C: 7E0E4107
	v_add_f32_e64 v4, v4, 1.0                                  // 000000007C10: D1010004 0001E504
	v_add_f32_e64 v5, v5, 1.0                                  // 000000007C18: D1010005 0001E505
	v_add_f32_e64 v6, v6, 1.0                                  // 000000007C20: D1010006 0001E506
	v_add_f32_e64 v7, v7, 1.0                                  // 000000007C28: D1010007 0001E507
	v_rcp_f32_e32 v4, v4                                       // 000000007C30: 7E084504
	v_rcp_f32_e32 v5, v5                                       // 000000007C34: 7E0A4505
	v_rcp_f32_e32 v6, v6                                       // 000000007C38: 7E0C4506
	v_rcp_f32_e32 v7, v7                                       // 000000007C3C: 7E0E4507
	v_mul_f32_e32 v84, v84, v4                                 // 000000007C40: 0AA80954
	v_mul_f32_e32 v85, v85, v5                                 // 000000007C44: 0AAA0B55
	v_mul_f32_e32 v86, v86, v6                                 // 000000007C48: 0AAC0D56
	v_mul_f32_e32 v87, v87, v7                                 // 000000007C4C: 0AAE0F57
	v_mul_f32_e32 v84, v84, v148                               // 000000007C50: 0AA92954
	v_mul_f32_e32 v85, v85, v149                               // 000000007C54: 0AAB2B55
	v_mul_f32_e32 v86, v86, v150                               // 000000007C58: 0AAD2D56
	v_mul_f32_e32 v87, v87, v151                               // 000000007C5C: 0AAF2F57
	v_pk_mul_f32 v[4:5], v[88:89], v[88:89]                    // 000000007C60: D3B14004 1802B158
	v_pk_mul_f32 v[6:7], v[90:91], v[90:91]                    // 000000007C68: D3B14006 1802B55A
	v_pk_fma_f32 v[4:5], v[4:5], s[78:79], v[8:9]              // 000000007C70: D3B04004 1C209D04
	v_pk_fma_f32 v[6:7], v[6:7], s[78:79], v[8:9]              // 000000007C78: D3B04006 1C209D06
	v_pk_mul_f32 v[4:5], v[4:5], v[88:89]                      // 000000007C80: D3B14004 1802B104
	v_pk_mul_f32 v[6:7], v[6:7], v[90:91]                      // 000000007C88: D3B14006 1802B506
	v_pk_mul_f32 v[4:5], v[4:5], s[60:61]                      // 000000007C90: D3B14004 18007904
	v_pk_mul_f32 v[6:7], v[6:7], s[60:61]                      // 000000007C98: D3B14006 18007906
	v_exp_f32_e32 v4, v4                                       // 000000007CA0: 7E084104
	v_exp_f32_e32 v5, v5                                       // 000000007CA4: 7E0A4105
	v_exp_f32_e32 v6, v6                                       // 000000007CA8: 7E0C4106
	v_exp_f32_e32 v7, v7                                       // 000000007CAC: 7E0E4107
	v_add_f32_e64 v4, v4, 1.0                                  // 000000007CB0: D1010004 0001E504
	v_add_f32_e64 v5, v5, 1.0                                  // 000000007CB8: D1010005 0001E505
	v_add_f32_e64 v6, v6, 1.0                                  // 000000007CC0: D1010006 0001E506
	v_add_f32_e64 v7, v7, 1.0                                  // 000000007CC8: D1010007 0001E507
	v_rcp_f32_e32 v4, v4                                       // 000000007CD0: 7E084504
	v_rcp_f32_e32 v5, v5                                       // 000000007CD4: 7E0A4505
	v_rcp_f32_e32 v6, v6                                       // 000000007CD8: 7E0C4506
	v_rcp_f32_e32 v7, v7                                       // 000000007CDC: 7E0E4507
	v_mul_f32_e32 v88, v88, v4                                 // 000000007CE0: 0AB00958
	v_mul_f32_e32 v89, v89, v5                                 // 000000007CE4: 0AB20B59
	v_mul_f32_e32 v90, v90, v6                                 // 000000007CE8: 0AB40D5A
	v_mul_f32_e32 v91, v91, v7                                 // 000000007CEC: 0AB60F5B
	v_mul_f32_e32 v88, v88, v152                               // 000000007CF0: 0AB13158
	v_mul_f32_e32 v89, v89, v153                               // 000000007CF4: 0AB33359
	v_mul_f32_e32 v90, v90, v154                               // 000000007CF8: 0AB5355A
	v_mul_f32_e32 v91, v91, v155                               // 000000007CFC: 0AB7375B
	v_pk_mul_f32 v[4:5], v[92:93], v[92:93]                    // 000000007D00: D3B14004 1802B95C
	v_pk_mul_f32 v[6:7], v[94:95], v[94:95]                    // 000000007D08: D3B14006 1802BD5E
	v_pk_fma_f32 v[4:5], v[4:5], s[78:79], v[8:9]              // 000000007D10: D3B04004 1C209D04
	v_pk_fma_f32 v[6:7], v[6:7], s[78:79], v[8:9]              // 000000007D18: D3B04006 1C209D06
	v_pk_mul_f32 v[4:5], v[4:5], v[92:93]                      // 000000007D20: D3B14004 1802B904
	v_pk_mul_f32 v[6:7], v[6:7], v[94:95]                      // 000000007D28: D3B14006 1802BD06
	v_pk_mul_f32 v[4:5], v[4:5], s[60:61]                      // 000000007D30: D3B14004 18007904
	v_pk_mul_f32 v[6:7], v[6:7], s[60:61]                      // 000000007D38: D3B14006 18007906
	v_exp_f32_e32 v4, v4                                       // 000000007D40: 7E084104
	v_exp_f32_e32 v5, v5                                       // 000000007D44: 7E0A4105
	v_exp_f32_e32 v6, v6                                       // 000000007D48: 7E0C4106
	v_exp_f32_e32 v7, v7                                       // 000000007D4C: 7E0E4107
	v_add_f32_e64 v4, v4, 1.0                                  // 000000007D50: D1010004 0001E504
	v_add_f32_e64 v5, v5, 1.0                                  // 000000007D58: D1010005 0001E505
	v_add_f32_e64 v6, v6, 1.0                                  // 000000007D60: D1010006 0001E506
	v_add_f32_e64 v7, v7, 1.0                                  // 000000007D68: D1010007 0001E507
	v_rcp_f32_e32 v4, v4                                       // 000000007D70: 7E084504
	v_rcp_f32_e32 v5, v5                                       // 000000007D74: 7E0A4505
	v_rcp_f32_e32 v6, v6                                       // 000000007D78: 7E0C4506
	v_rcp_f32_e32 v7, v7                                       // 000000007D7C: 7E0E4507
	v_mul_f32_e32 v92, v92, v4                                 // 000000007D80: 0AB8095C
	v_mul_f32_e32 v93, v93, v5                                 // 000000007D84: 0ABA0B5D
	v_mul_f32_e32 v94, v94, v6                                 // 000000007D88: 0ABC0D5E
	v_mul_f32_e32 v95, v95, v7                                 // 000000007D8C: 0ABE0F5F
	v_mul_f32_e32 v92, v92, v156                               // 000000007D90: 0AB9395C
	v_mul_f32_e32 v93, v93, v157                               // 000000007D94: 0ABB3B5D
	v_mul_f32_e32 v94, v94, v158                               // 000000007D98: 0ABD3D5E
	v_mul_f32_e32 v95, v95, v159                               // 000000007D9C: 0ABF3F5F
	v_pk_mul_f32 v[4:5], v[96:97], v[96:97]                    // 000000007DA0: D3B14004 1802C160
	v_pk_mul_f32 v[6:7], v[98:99], v[98:99]                    // 000000007DA8: D3B14006 1802C562
	v_pk_fma_f32 v[4:5], v[4:5], s[78:79], v[8:9]              // 000000007DB0: D3B04004 1C209D04
	v_pk_fma_f32 v[6:7], v[6:7], s[78:79], v[8:9]              // 000000007DB8: D3B04006 1C209D06
	v_pk_mul_f32 v[4:5], v[4:5], v[96:97]                      // 000000007DC0: D3B14004 1802C104
	v_pk_mul_f32 v[6:7], v[6:7], v[98:99]                      // 000000007DC8: D3B14006 1802C506
	v_pk_mul_f32 v[4:5], v[4:5], s[60:61]                      // 000000007DD0: D3B14004 18007904
	v_pk_mul_f32 v[6:7], v[6:7], s[60:61]                      // 000000007DD8: D3B14006 18007906
	v_exp_f32_e32 v4, v4                                       // 000000007DE0: 7E084104
	v_exp_f32_e32 v5, v5                                       // 000000007DE4: 7E0A4105
	v_exp_f32_e32 v6, v6                                       // 000000007DE8: 7E0C4106
	v_exp_f32_e32 v7, v7                                       // 000000007DEC: 7E0E4107
	v_add_f32_e64 v4, v4, 1.0                                  // 000000007DF0: D1010004 0001E504
	v_add_f32_e64 v5, v5, 1.0                                  // 000000007DF8: D1010005 0001E505
	v_add_f32_e64 v6, v6, 1.0                                  // 000000007E00: D1010006 0001E506
	v_add_f32_e64 v7, v7, 1.0                                  // 000000007E08: D1010007 0001E507
	v_rcp_f32_e32 v4, v4                                       // 000000007E10: 7E084504
	v_rcp_f32_e32 v5, v5                                       // 000000007E14: 7E0A4505
	v_rcp_f32_e32 v6, v6                                       // 000000007E18: 7E0C4506
	v_rcp_f32_e32 v7, v7                                       // 000000007E1C: 7E0E4507
	v_mul_f32_e32 v96, v96, v4                                 // 000000007E20: 0AC00960
	v_mul_f32_e32 v97, v97, v5                                 // 000000007E24: 0AC20B61
	v_mul_f32_e32 v98, v98, v6                                 // 000000007E28: 0AC40D62
	v_mul_f32_e32 v99, v99, v7                                 // 000000007E2C: 0AC60F63
	v_mul_f32_e32 v96, v96, v160                               // 000000007E30: 0AC14160
	v_mul_f32_e32 v97, v97, v161                               // 000000007E34: 0AC34361
	v_mul_f32_e32 v98, v98, v162                               // 000000007E38: 0AC54562
	v_mul_f32_e32 v99, v99, v163                               // 000000007E3C: 0AC74763
	v_pk_mul_f32 v[4:5], v[100:101], v[100:101]                // 000000007E40: D3B14004 1802C964
	v_pk_mul_f32 v[6:7], v[102:103], v[102:103]                // 000000007E48: D3B14006 1802CD66
	v_pk_fma_f32 v[4:5], v[4:5], s[78:79], v[8:9]              // 000000007E50: D3B04004 1C209D04
	v_pk_fma_f32 v[6:7], v[6:7], s[78:79], v[8:9]              // 000000007E58: D3B04006 1C209D06
	v_pk_mul_f32 v[4:5], v[4:5], v[100:101]                    // 000000007E60: D3B14004 1802C904
	v_pk_mul_f32 v[6:7], v[6:7], v[102:103]                    // 000000007E68: D3B14006 1802CD06
	v_pk_mul_f32 v[4:5], v[4:5], s[60:61]                      // 000000007E70: D3B14004 18007904
	v_pk_mul_f32 v[6:7], v[6:7], s[60:61]                      // 000000007E78: D3B14006 18007906
	v_exp_f32_e32 v4, v4                                       // 000000007E80: 7E084104
	v_exp_f32_e32 v5, v5                                       // 000000007E84: 7E0A4105
	v_exp_f32_e32 v6, v6                                       // 000000007E88: 7E0C4106
	v_exp_f32_e32 v7, v7                                       // 000000007E8C: 7E0E4107
	v_add_f32_e64 v4, v4, 1.0                                  // 000000007E90: D1010004 0001E504
	v_add_f32_e64 v5, v5, 1.0                                  // 000000007E98: D1010005 0001E505
	v_add_f32_e64 v6, v6, 1.0                                  // 000000007EA0: D1010006 0001E506
	v_add_f32_e64 v7, v7, 1.0                                  // 000000007EA8: D1010007 0001E507
	v_rcp_f32_e32 v4, v4                                       // 000000007EB0: 7E084504
	v_rcp_f32_e32 v5, v5                                       // 000000007EB4: 7E0A4505
	v_rcp_f32_e32 v6, v6                                       // 000000007EB8: 7E0C4506
	v_rcp_f32_e32 v7, v7                                       // 000000007EBC: 7E0E4507
	v_mul_f32_e32 v100, v100, v4                               // 000000007EC0: 0AC80964
	v_mul_f32_e32 v101, v101, v5                               // 000000007EC4: 0ACA0B65
	v_mul_f32_e32 v102, v102, v6                               // 000000007EC8: 0ACC0D66
	v_mul_f32_e32 v103, v103, v7                               // 000000007ECC: 0ACE0F67
	v_mul_f32_e32 v100, v100, v164                             // 000000007ED0: 0AC94964
	v_mul_f32_e32 v101, v101, v165                             // 000000007ED4: 0ACB4B65
	v_mul_f32_e32 v102, v102, v166                             // 000000007ED8: 0ACD4D66
	v_mul_f32_e32 v103, v103, v167                             // 000000007EDC: 0ACF4F67
	v_pk_mul_f32 v[4:5], v[104:105], v[104:105]                // 000000007EE0: D3B14004 1802D168
	v_pk_mul_f32 v[6:7], v[106:107], v[106:107]                // 000000007EE8: D3B14006 1802D56A
	v_pk_fma_f32 v[4:5], v[4:5], s[78:79], v[8:9]              // 000000007EF0: D3B04004 1C209D04
	v_pk_fma_f32 v[6:7], v[6:7], s[78:79], v[8:9]              // 000000007EF8: D3B04006 1C209D06
	v_pk_mul_f32 v[4:5], v[4:5], v[104:105]                    // 000000007F00: D3B14004 1802D104
	v_pk_mul_f32 v[6:7], v[6:7], v[106:107]                    // 000000007F08: D3B14006 1802D506
	v_pk_mul_f32 v[4:5], v[4:5], s[60:61]                      // 000000007F10: D3B14004 18007904
	v_pk_mul_f32 v[6:7], v[6:7], s[60:61]                      // 000000007F18: D3B14006 18007906
	v_exp_f32_e32 v4, v4                                       // 000000007F20: 7E084104
	v_exp_f32_e32 v5, v5                                       // 000000007F24: 7E0A4105
	v_exp_f32_e32 v6, v6                                       // 000000007F28: 7E0C4106
	v_exp_f32_e32 v7, v7                                       // 000000007F2C: 7E0E4107
	v_add_f32_e64 v4, v4, 1.0                                  // 000000007F30: D1010004 0001E504
	v_add_f32_e64 v5, v5, 1.0                                  // 000000007F38: D1010005 0001E505
	v_add_f32_e64 v6, v6, 1.0                                  // 000000007F40: D1010006 0001E506
	v_add_f32_e64 v7, v7, 1.0                                  // 000000007F48: D1010007 0001E507
	v_rcp_f32_e32 v4, v4                                       // 000000007F50: 7E084504
	v_rcp_f32_e32 v5, v5                                       // 000000007F54: 7E0A4505
	v_rcp_f32_e32 v6, v6                                       // 000000007F58: 7E0C4506
	v_rcp_f32_e32 v7, v7                                       // 000000007F5C: 7E0E4507
	v_mul_f32_e32 v104, v104, v4                               // 000000007F60: 0AD00968
	v_mul_f32_e32 v105, v105, v5                               // 000000007F64: 0AD20B69
	v_mul_f32_e32 v106, v106, v6                               // 000000007F68: 0AD40D6A
	v_mul_f32_e32 v107, v107, v7                               // 000000007F6C: 0AD60F6B
	v_mul_f32_e32 v104, v104, v168                             // 000000007F70: 0AD15168
	v_mul_f32_e32 v105, v105, v169                             // 000000007F74: 0AD35369
	v_mul_f32_e32 v106, v106, v170                             // 000000007F78: 0AD5556A
	v_mul_f32_e32 v107, v107, v171                             // 000000007F7C: 0AD7576B
	v_pk_mul_f32 v[4:5], v[108:109], v[108:109]                // 000000007F80: D3B14004 1802D96C
	v_pk_mul_f32 v[6:7], v[110:111], v[110:111]                // 000000007F88: D3B14006 1802DD6E
	v_pk_fma_f32 v[4:5], v[4:5], s[78:79], v[8:9]              // 000000007F90: D3B04004 1C209D04
	v_pk_fma_f32 v[6:7], v[6:7], s[78:79], v[8:9]              // 000000007F98: D3B04006 1C209D06
	v_pk_mul_f32 v[4:5], v[4:5], v[108:109]                    // 000000007FA0: D3B14004 1802D904
	v_pk_mul_f32 v[6:7], v[6:7], v[110:111]                    // 000000007FA8: D3B14006 1802DD06
	v_pk_mul_f32 v[4:5], v[4:5], s[60:61]                      // 000000007FB0: D3B14004 18007904
	v_pk_mul_f32 v[6:7], v[6:7], s[60:61]                      // 000000007FB8: D3B14006 18007906
	v_exp_f32_e32 v4, v4                                       // 000000007FC0: 7E084104
	v_exp_f32_e32 v5, v5                                       // 000000007FC4: 7E0A4105
	v_exp_f32_e32 v6, v6                                       // 000000007FC8: 7E0C4106
	v_exp_f32_e32 v7, v7                                       // 000000007FCC: 7E0E4107
	v_add_f32_e64 v4, v4, 1.0                                  // 000000007FD0: D1010004 0001E504
	v_add_f32_e64 v5, v5, 1.0                                  // 000000007FD8: D1010005 0001E505
	v_add_f32_e64 v6, v6, 1.0                                  // 000000007FE0: D1010006 0001E506
	v_add_f32_e64 v7, v7, 1.0                                  // 000000007FE8: D1010007 0001E507
	v_rcp_f32_e32 v4, v4                                       // 000000007FF0: 7E084504
	v_rcp_f32_e32 v5, v5                                       // 000000007FF4: 7E0A4505
	v_rcp_f32_e32 v6, v6                                       // 000000007FF8: 7E0C4506
	v_rcp_f32_e32 v7, v7                                       // 000000007FFC: 7E0E4507
	v_mul_f32_e32 v108, v108, v4                               // 000000008000: 0AD8096C
	v_mul_f32_e32 v109, v109, v5                               // 000000008004: 0ADA0B6D
	v_mul_f32_e32 v110, v110, v6                               // 000000008008: 0ADC0D6E
	v_mul_f32_e32 v111, v111, v7                               // 00000000800C: 0ADE0F6F
	v_mul_f32_e32 v108, v108, v172                             // 000000008010: 0AD9596C
	v_mul_f32_e32 v109, v109, v173                             // 000000008014: 0ADB5B6D
	v_mul_f32_e32 v110, v110, v174                             // 000000008018: 0ADD5D6E
	v_mul_f32_e32 v111, v111, v175                             // 00000000801C: 0ADF5F6F
	v_pk_mul_f32 v[4:5], v[112:113], v[112:113]                // 000000008020: D3B14004 1802E170
	v_pk_mul_f32 v[6:7], v[114:115], v[114:115]                // 000000008028: D3B14006 1802E572
	v_pk_fma_f32 v[4:5], v[4:5], s[78:79], v[8:9]              // 000000008030: D3B04004 1C209D04
	v_pk_fma_f32 v[6:7], v[6:7], s[78:79], v[8:9]              // 000000008038: D3B04006 1C209D06
	v_pk_mul_f32 v[4:5], v[4:5], v[112:113]                    // 000000008040: D3B14004 1802E104
	v_pk_mul_f32 v[6:7], v[6:7], v[114:115]                    // 000000008048: D3B14006 1802E506
	v_pk_mul_f32 v[4:5], v[4:5], s[60:61]                      // 000000008050: D3B14004 18007904
	v_pk_mul_f32 v[6:7], v[6:7], s[60:61]                      // 000000008058: D3B14006 18007906
	v_exp_f32_e32 v4, v4                                       // 000000008060: 7E084104
	v_exp_f32_e32 v5, v5                                       // 000000008064: 7E0A4105
	v_exp_f32_e32 v6, v6                                       // 000000008068: 7E0C4106
	v_exp_f32_e32 v7, v7                                       // 00000000806C: 7E0E4107
	v_add_f32_e64 v4, v4, 1.0                                  // 000000008070: D1010004 0001E504
	v_add_f32_e64 v5, v5, 1.0                                  // 000000008078: D1010005 0001E505
	v_add_f32_e64 v6, v6, 1.0                                  // 000000008080: D1010006 0001E506
	v_add_f32_e64 v7, v7, 1.0                                  // 000000008088: D1010007 0001E507
	v_rcp_f32_e32 v4, v4                                       // 000000008090: 7E084504
	v_rcp_f32_e32 v5, v5                                       // 000000008094: 7E0A4505
	v_rcp_f32_e32 v6, v6                                       // 000000008098: 7E0C4506
	v_rcp_f32_e32 v7, v7                                       // 00000000809C: 7E0E4507
	v_mul_f32_e32 v112, v112, v4                               // 0000000080A0: 0AE00970
	v_mul_f32_e32 v113, v113, v5                               // 0000000080A4: 0AE20B71
	v_mul_f32_e32 v114, v114, v6                               // 0000000080A8: 0AE40D72
	v_mul_f32_e32 v115, v115, v7                               // 0000000080AC: 0AE60F73
	v_mul_f32_e32 v112, v112, v176                             // 0000000080B0: 0AE16170
	v_mul_f32_e32 v113, v113, v177                             // 0000000080B4: 0AE36371
	v_mul_f32_e32 v114, v114, v178                             // 0000000080B8: 0AE56572
	v_mul_f32_e32 v115, v115, v179                             // 0000000080BC: 0AE76773
	v_pk_mul_f32 v[4:5], v[116:117], v[116:117]                // 0000000080C0: D3B14004 1802E974
	v_pk_mul_f32 v[6:7], v[118:119], v[118:119]                // 0000000080C8: D3B14006 1802ED76
	v_pk_fma_f32 v[4:5], v[4:5], s[78:79], v[8:9]              // 0000000080D0: D3B04004 1C209D04
	v_pk_fma_f32 v[6:7], v[6:7], s[78:79], v[8:9]              // 0000000080D8: D3B04006 1C209D06
	v_pk_mul_f32 v[4:5], v[4:5], v[116:117]                    // 0000000080E0: D3B14004 1802E904
	v_pk_mul_f32 v[6:7], v[6:7], v[118:119]                    // 0000000080E8: D3B14006 1802ED06
	v_pk_mul_f32 v[4:5], v[4:5], s[60:61]                      // 0000000080F0: D3B14004 18007904
	v_pk_mul_f32 v[6:7], v[6:7], s[60:61]                      // 0000000080F8: D3B14006 18007906
	v_exp_f32_e32 v4, v4                                       // 000000008100: 7E084104
	v_exp_f32_e32 v5, v5                                       // 000000008104: 7E0A4105
	v_exp_f32_e32 v6, v6                                       // 000000008108: 7E0C4106
	v_exp_f32_e32 v7, v7                                       // 00000000810C: 7E0E4107
	v_add_f32_e64 v4, v4, 1.0                                  // 000000008110: D1010004 0001E504
	v_add_f32_e64 v5, v5, 1.0                                  // 000000008118: D1010005 0001E505
	v_add_f32_e64 v6, v6, 1.0                                  // 000000008120: D1010006 0001E506
	v_add_f32_e64 v7, v7, 1.0                                  // 000000008128: D1010007 0001E507
	v_rcp_f32_e32 v4, v4                                       // 000000008130: 7E084504
	v_rcp_f32_e32 v5, v5                                       // 000000008134: 7E0A4505
	v_rcp_f32_e32 v6, v6                                       // 000000008138: 7E0C4506
	v_rcp_f32_e32 v7, v7                                       // 00000000813C: 7E0E4507
	v_mul_f32_e32 v116, v116, v4                               // 000000008140: 0AE80974
	v_mul_f32_e32 v117, v117, v5                               // 000000008144: 0AEA0B75
	v_mul_f32_e32 v118, v118, v6                               // 000000008148: 0AEC0D76
	v_mul_f32_e32 v119, v119, v7                               // 00000000814C: 0AEE0F77
	v_mul_f32_e32 v116, v116, v180                             // 000000008150: 0AE96974
	v_mul_f32_e32 v117, v117, v181                             // 000000008154: 0AEB6B75
	v_mul_f32_e32 v118, v118, v182                             // 000000008158: 0AED6D76
	v_mul_f32_e32 v119, v119, v183                             // 00000000815C: 0AEF6F77
	v_pk_mul_f32 v[4:5], v[120:121], v[120:121]                // 000000008160: D3B14004 1802F178
	v_pk_mul_f32 v[6:7], v[122:123], v[122:123]                // 000000008168: D3B14006 1802F57A
	v_pk_fma_f32 v[4:5], v[4:5], s[78:79], v[8:9]              // 000000008170: D3B04004 1C209D04
	v_pk_fma_f32 v[6:7], v[6:7], s[78:79], v[8:9]              // 000000008178: D3B04006 1C209D06
	v_pk_mul_f32 v[4:5], v[4:5], v[120:121]                    // 000000008180: D3B14004 1802F104
	v_pk_mul_f32 v[6:7], v[6:7], v[122:123]                    // 000000008188: D3B14006 1802F506
	v_pk_mul_f32 v[4:5], v[4:5], s[60:61]                      // 000000008190: D3B14004 18007904
	v_pk_mul_f32 v[6:7], v[6:7], s[60:61]                      // 000000008198: D3B14006 18007906
	v_exp_f32_e32 v4, v4                                       // 0000000081A0: 7E084104
	v_exp_f32_e32 v5, v5                                       // 0000000081A4: 7E0A4105
	v_exp_f32_e32 v6, v6                                       // 0000000081A8: 7E0C4106
	v_exp_f32_e32 v7, v7                                       // 0000000081AC: 7E0E4107
	v_add_f32_e64 v4, v4, 1.0                                  // 0000000081B0: D1010004 0001E504
	v_add_f32_e64 v5, v5, 1.0                                  // 0000000081B8: D1010005 0001E505
	v_add_f32_e64 v6, v6, 1.0                                  // 0000000081C0: D1010006 0001E506
	v_add_f32_e64 v7, v7, 1.0                                  // 0000000081C8: D1010007 0001E507
	v_rcp_f32_e32 v4, v4                                       // 0000000081D0: 7E084504
	v_rcp_f32_e32 v5, v5                                       // 0000000081D4: 7E0A4505
	v_rcp_f32_e32 v6, v6                                       // 0000000081D8: 7E0C4506
	v_rcp_f32_e32 v7, v7                                       // 0000000081DC: 7E0E4507
	v_mul_f32_e32 v120, v120, v4                               // 0000000081E0: 0AF00978
	v_mul_f32_e32 v121, v121, v5                               // 0000000081E4: 0AF20B79
	v_mul_f32_e32 v122, v122, v6                               // 0000000081E8: 0AF40D7A
	v_mul_f32_e32 v123, v123, v7                               // 0000000081EC: 0AF60F7B
	v_mul_f32_e32 v120, v120, v184                             // 0000000081F0: 0AF17178
	v_mul_f32_e32 v121, v121, v185                             // 0000000081F4: 0AF37379
	v_mul_f32_e32 v122, v122, v186                             // 0000000081F8: 0AF5757A
	v_mul_f32_e32 v123, v123, v187                             // 0000000081FC: 0AF7777B
	v_pk_mul_f32 v[4:5], v[124:125], v[124:125]                // 000000008200: D3B14004 1802F97C
	v_pk_mul_f32 v[6:7], v[126:127], v[126:127]                // 000000008208: D3B14006 1802FD7E
	v_pk_fma_f32 v[4:5], v[4:5], s[78:79], v[8:9]              // 000000008210: D3B04004 1C209D04
	v_pk_fma_f32 v[6:7], v[6:7], s[78:79], v[8:9]              // 000000008218: D3B04006 1C209D06
	v_pk_mul_f32 v[4:5], v[4:5], v[124:125]                    // 000000008220: D3B14004 1802F904
	v_pk_mul_f32 v[6:7], v[6:7], v[126:127]                    // 000000008228: D3B14006 1802FD06
	v_pk_mul_f32 v[4:5], v[4:5], s[60:61]                      // 000000008230: D3B14004 18007904
	v_pk_mul_f32 v[6:7], v[6:7], s[60:61]                      // 000000008238: D3B14006 18007906
	v_exp_f32_e32 v4, v4                                       // 000000008240: 7E084104
	v_exp_f32_e32 v5, v5                                       // 000000008244: 7E0A4105
	v_exp_f32_e32 v6, v6                                       // 000000008248: 7E0C4106
	v_exp_f32_e32 v7, v7                                       // 00000000824C: 7E0E4107
	v_add_f32_e64 v4, v4, 1.0                                  // 000000008250: D1010004 0001E504
	v_add_f32_e64 v5, v5, 1.0                                  // 000000008258: D1010005 0001E505
	v_add_f32_e64 v6, v6, 1.0                                  // 000000008260: D1010006 0001E506
	v_add_f32_e64 v7, v7, 1.0                                  // 000000008268: D1010007 0001E507
	v_rcp_f32_e32 v4, v4                                       // 000000008270: 7E084504
	v_rcp_f32_e32 v5, v5                                       // 000000008274: 7E0A4505
	v_rcp_f32_e32 v6, v6                                       // 000000008278: 7E0C4506
	v_rcp_f32_e32 v7, v7                                       // 00000000827C: 7E0E4507
	v_mul_f32_e32 v124, v124, v4                               // 000000008280: 0AF8097C
	v_mul_f32_e32 v125, v125, v5                               // 000000008284: 0AFA0B7D
	v_mul_f32_e32 v126, v126, v6                               // 000000008288: 0AFC0D7E
	v_mul_f32_e32 v127, v127, v7                               // 00000000828C: 0AFE0F7F
	v_mul_f32_e32 v124, v124, v188                             // 000000008290: 0AF9797C
	v_mul_f32_e32 v125, v125, v189                             // 000000008294: 0AFB7B7D
	v_mul_f32_e32 v126, v126, v190                             // 000000008298: 0AFD7D7E
	v_mul_f32_e32 v127, v127, v191                             // 00000000829C: 0AFF7F7F
	v_pk_mul_f32 v[4:5], v[128:129], v[128:129]                // 0000000082A0: D3B14004 18030180
	v_pk_mul_f32 v[6:7], v[130:131], v[130:131]                // 0000000082A8: D3B14006 18030582
	v_pk_fma_f32 v[4:5], v[4:5], s[78:79], v[8:9]              // 0000000082B0: D3B04004 1C209D04
	v_pk_fma_f32 v[6:7], v[6:7], s[78:79], v[8:9]              // 0000000082B8: D3B04006 1C209D06
	v_pk_mul_f32 v[4:5], v[4:5], v[128:129]                    // 0000000082C0: D3B14004 18030104
	v_pk_mul_f32 v[6:7], v[6:7], v[130:131]                    // 0000000082C8: D3B14006 18030506
	v_pk_mul_f32 v[4:5], v[4:5], s[60:61]                      // 0000000082D0: D3B14004 18007904
	v_pk_mul_f32 v[6:7], v[6:7], s[60:61]                      // 0000000082D8: D3B14006 18007906
	v_exp_f32_e32 v4, v4                                       // 0000000082E0: 7E084104
	v_exp_f32_e32 v5, v5                                       // 0000000082E4: 7E0A4105
	v_exp_f32_e32 v6, v6                                       // 0000000082E8: 7E0C4106
	v_exp_f32_e32 v7, v7                                       // 0000000082EC: 7E0E4107
	v_add_f32_e64 v4, v4, 1.0                                  // 0000000082F0: D1010004 0001E504
	v_add_f32_e64 v5, v5, 1.0                                  // 0000000082F8: D1010005 0001E505
	v_add_f32_e64 v6, v6, 1.0                                  // 000000008300: D1010006 0001E506
	v_add_f32_e64 v7, v7, 1.0                                  // 000000008308: D1010007 0001E507
	v_rcp_f32_e32 v4, v4                                       // 000000008310: 7E084504
	v_rcp_f32_e32 v5, v5                                       // 000000008314: 7E0A4505
	v_rcp_f32_e32 v6, v6                                       // 000000008318: 7E0C4506
	v_rcp_f32_e32 v7, v7                                       // 00000000831C: 7E0E4507
	v_mul_f32_e32 v128, v128, v4                               // 000000008320: 0B000980
	v_mul_f32_e32 v129, v129, v5                               // 000000008324: 0B020B81
	v_mul_f32_e32 v130, v130, v6                               // 000000008328: 0B040D82
	v_mul_f32_e32 v131, v131, v7                               // 00000000832C: 0B060F83
	v_mul_f32_e32 v128, v128, v192                             // 000000008330: 0B018180
	v_mul_f32_e32 v129, v129, v193                             // 000000008334: 0B038381
	v_mul_f32_e32 v130, v130, v194                             // 000000008338: 0B058582
	v_mul_f32_e32 v131, v131, v195                             // 00000000833C: 0B078783
	v_pk_mul_f32 v[4:5], v[132:133], v[132:133]                // 000000008340: D3B14004 18030984
	v_pk_mul_f32 v[6:7], v[134:135], v[134:135]                // 000000008348: D3B14006 18030D86
	v_pk_fma_f32 v[4:5], v[4:5], s[78:79], v[8:9]              // 000000008350: D3B04004 1C209D04
	v_pk_fma_f32 v[6:7], v[6:7], s[78:79], v[8:9]              // 000000008358: D3B04006 1C209D06
	v_pk_mul_f32 v[4:5], v[4:5], v[132:133]                    // 000000008360: D3B14004 18030904
	v_pk_mul_f32 v[6:7], v[6:7], v[134:135]                    // 000000008368: D3B14006 18030D06
	v_pk_mul_f32 v[4:5], v[4:5], s[60:61]                      // 000000008370: D3B14004 18007904
	v_pk_mul_f32 v[6:7], v[6:7], s[60:61]                      // 000000008378: D3B14006 18007906
	v_exp_f32_e32 v4, v4                                       // 000000008380: 7E084104
	v_exp_f32_e32 v5, v5                                       // 000000008384: 7E0A4105
	v_exp_f32_e32 v6, v6                                       // 000000008388: 7E0C4106
	v_exp_f32_e32 v7, v7                                       // 00000000838C: 7E0E4107
	v_add_f32_e64 v4, v4, 1.0                                  // 000000008390: D1010004 0001E504
	v_add_f32_e64 v5, v5, 1.0                                  // 000000008398: D1010005 0001E505
	v_add_f32_e64 v6, v6, 1.0                                  // 0000000083A0: D1010006 0001E506
	v_add_f32_e64 v7, v7, 1.0                                  // 0000000083A8: D1010007 0001E507
	v_rcp_f32_e32 v4, v4                                       // 0000000083B0: 7E084504
	v_rcp_f32_e32 v5, v5                                       // 0000000083B4: 7E0A4505
	v_rcp_f32_e32 v6, v6                                       // 0000000083B8: 7E0C4506
	v_rcp_f32_e32 v7, v7                                       // 0000000083BC: 7E0E4507
	v_mul_f32_e32 v132, v132, v4                               // 0000000083C0: 0B080984
	v_mul_f32_e32 v133, v133, v5                               // 0000000083C4: 0B0A0B85
	v_mul_f32_e32 v134, v134, v6                               // 0000000083C8: 0B0C0D86
	v_mul_f32_e32 v135, v135, v7                               // 0000000083CC: 0B0E0F87
	v_mul_f32_e32 v132, v132, v196                             // 0000000083D0: 0B098984
	v_mul_f32_e32 v133, v133, v197                             // 0000000083D4: 0B0B8B85
	v_mul_f32_e32 v134, v134, v198                             // 0000000083D8: 0B0D8D86
	v_mul_f32_e32 v135, v135, v199                             // 0000000083DC: 0B0F8F87
	v_pk_mul_f32 v[4:5], v[136:137], v[136:137]                // 0000000083E0: D3B14004 18031188
	v_pk_mul_f32 v[6:7], v[138:139], v[138:139]                // 0000000083E8: D3B14006 1803158A
	v_pk_fma_f32 v[4:5], v[4:5], s[78:79], v[8:9]              // 0000000083F0: D3B04004 1C209D04
	v_pk_fma_f32 v[6:7], v[6:7], s[78:79], v[8:9]              // 0000000083F8: D3B04006 1C209D06
	v_pk_mul_f32 v[4:5], v[4:5], v[136:137]                    // 000000008400: D3B14004 18031104
	v_pk_mul_f32 v[6:7], v[6:7], v[138:139]                    // 000000008408: D3B14006 18031506
	v_pk_mul_f32 v[4:5], v[4:5], s[60:61]                      // 000000008410: D3B14004 18007904
	v_pk_mul_f32 v[6:7], v[6:7], s[60:61]                      // 000000008418: D3B14006 18007906
	v_exp_f32_e32 v4, v4                                       // 000000008420: 7E084104
	v_exp_f32_e32 v5, v5                                       // 000000008424: 7E0A4105
	v_exp_f32_e32 v6, v6                                       // 000000008428: 7E0C4106
	v_exp_f32_e32 v7, v7                                       // 00000000842C: 7E0E4107
	v_add_f32_e64 v4, v4, 1.0                                  // 000000008430: D1010004 0001E504
	v_add_f32_e64 v5, v5, 1.0                                  // 000000008438: D1010005 0001E505
	v_add_f32_e64 v6, v6, 1.0                                  // 000000008440: D1010006 0001E506
	v_add_f32_e64 v7, v7, 1.0                                  // 000000008448: D1010007 0001E507
	v_rcp_f32_e32 v4, v4                                       // 000000008450: 7E084504
	v_rcp_f32_e32 v5, v5                                       // 000000008454: 7E0A4505
	v_rcp_f32_e32 v6, v6                                       // 000000008458: 7E0C4506
	v_rcp_f32_e32 v7, v7                                       // 00000000845C: 7E0E4507
	v_mul_f32_e32 v136, v136, v4                               // 000000008460: 0B100988
	v_mul_f32_e32 v137, v137, v5                               // 000000008464: 0B120B89
	v_mul_f32_e32 v138, v138, v6                               // 000000008468: 0B140D8A
	v_mul_f32_e32 v139, v139, v7                               // 00000000846C: 0B160F8B
	v_mul_f32_e32 v136, v136, v200                             // 000000008470: 0B119188
	v_mul_f32_e32 v137, v137, v201                             // 000000008474: 0B139389
	v_mul_f32_e32 v138, v138, v202                             // 000000008478: 0B15958A
	v_mul_f32_e32 v139, v139, v203                             // 00000000847C: 0B17978B
	v_pk_mul_f32 v[4:5], v[140:141], v[140:141]                // 000000008480: D3B14004 1803198C
	v_pk_mul_f32 v[6:7], v[142:143], v[142:143]                // 000000008488: D3B14006 18031D8E
	v_pk_fma_f32 v[4:5], v[4:5], s[78:79], v[8:9]              // 000000008490: D3B04004 1C209D04
	v_pk_fma_f32 v[6:7], v[6:7], s[78:79], v[8:9]              // 000000008498: D3B04006 1C209D06
	v_pk_mul_f32 v[4:5], v[4:5], v[140:141]                    // 0000000084A0: D3B14004 18031904
	v_pk_mul_f32 v[6:7], v[6:7], v[142:143]                    // 0000000084A8: D3B14006 18031D06
	v_pk_mul_f32 v[4:5], v[4:5], s[60:61]                      // 0000000084B0: D3B14004 18007904
	v_pk_mul_f32 v[6:7], v[6:7], s[60:61]                      // 0000000084B8: D3B14006 18007906
	v_exp_f32_e32 v4, v4                                       // 0000000084C0: 7E084104
	v_exp_f32_e32 v5, v5                                       // 0000000084C4: 7E0A4105
	v_exp_f32_e32 v6, v6                                       // 0000000084C8: 7E0C4106
	v_exp_f32_e32 v7, v7                                       // 0000000084CC: 7E0E4107
	v_add_f32_e64 v4, v4, 1.0                                  // 0000000084D0: D1010004 0001E504
	v_add_f32_e64 v5, v5, 1.0                                  // 0000000084D8: D1010005 0001E505
	v_add_f32_e64 v6, v6, 1.0                                  // 0000000084E0: D1010006 0001E506
	v_add_f32_e64 v7, v7, 1.0                                  // 0000000084E8: D1010007 0001E507
	v_rcp_f32_e32 v4, v4                                       // 0000000084F0: 7E084504
	v_rcp_f32_e32 v5, v5                                       // 0000000084F4: 7E0A4505
	v_rcp_f32_e32 v6, v6                                       // 0000000084F8: 7E0C4506
	v_rcp_f32_e32 v7, v7                                       // 0000000084FC: 7E0E4507
	v_mul_f32_e32 v140, v140, v4                               // 000000008500: 0B18098C
	v_mul_f32_e32 v141, v141, v5                               // 000000008504: 0B1A0B8D
	v_mul_f32_e32 v142, v142, v6                               // 000000008508: 0B1C0D8E
	v_mul_f32_e32 v143, v143, v7                               // 00000000850C: 0B1E0F8F
	v_mul_f32_e32 v140, v140, v204                             // 000000008510: 0B19998C
	v_mul_f32_e32 v141, v141, v205                             // 000000008514: 0B1B9B8D
	v_mul_f32_e32 v142, v142, v206                             // 000000008518: 0B1D9D8E
	v_mul_f32_e32 v143, v143, v207                             // 00000000851C: 0B1F9F8F
	s_branch label_18C9                                        // 000000008520: BF820200

0000000000008524 <label_16C9>:
	v_mul_f32_e64 v4, -v80, s6                                 // 000000008524: D1050004 20000D50
	v_mul_f32_e64 v5, -v81, s6                                 // 00000000852C: D1050005 20000D51
	v_mul_f32_e64 v6, -v82, s6                                 // 000000008534: D1050006 20000D52
	v_mul_f32_e64 v7, -v83, s6                                 // 00000000853C: D1050007 20000D53
	v_exp_f32_e32 v4, v4                                       // 000000008544: 7E084104
	v_exp_f32_e32 v5, v5                                       // 000000008548: 7E0A4105
	v_exp_f32_e32 v6, v6                                       // 00000000854C: 7E0C4106
	v_exp_f32_e32 v7, v7                                       // 000000008550: 7E0E4107
	v_add_f32_e64 v4, v4, 1.0                                  // 000000008554: D1010004 0001E504
	v_add_f32_e64 v5, v5, 1.0                                  // 00000000855C: D1010005 0001E505
	v_add_f32_e64 v6, v6, 1.0                                  // 000000008564: D1010006 0001E506
	v_add_f32_e64 v7, v7, 1.0                                  // 00000000856C: D1010007 0001E507
	v_rcp_f32_e32 v4, v4                                       // 000000008574: 7E084504
	v_rcp_f32_e32 v5, v5                                       // 000000008578: 7E0A4505
	v_rcp_f32_e32 v6, v6                                       // 00000000857C: 7E0C4506
	v_rcp_f32_e32 v7, v7                                       // 000000008580: 7E0E4507
	v_mul_f32_e32 v80, v80, v4                                 // 000000008584: 0AA00950
	v_mul_f32_e32 v81, v81, v5                                 // 000000008588: 0AA20B51
	v_mul_f32_e32 v82, v82, v6                                 // 00000000858C: 0AA40D52
	v_mul_f32_e32 v83, v83, v7                                 // 000000008590: 0AA60F53
	v_mul_f32_e32 v80, v80, v144                               // 000000008594: 0AA12150
	v_mul_f32_e32 v81, v81, v145                               // 000000008598: 0AA32351
	v_mul_f32_e32 v82, v82, v146                               // 00000000859C: 0AA52552
	v_mul_f32_e32 v83, v83, v147                               // 0000000085A0: 0AA72753
	v_mul_f32_e64 v4, -v84, s6                                 // 0000000085A4: D1050004 20000D54
	v_mul_f32_e64 v5, -v85, s6                                 // 0000000085AC: D1050005 20000D55
	v_mul_f32_e64 v6, -v86, s6                                 // 0000000085B4: D1050006 20000D56
	v_mul_f32_e64 v7, -v87, s6                                 // 0000000085BC: D1050007 20000D57
	v_exp_f32_e32 v4, v4                                       // 0000000085C4: 7E084104
	v_exp_f32_e32 v5, v5                                       // 0000000085C8: 7E0A4105
	v_exp_f32_e32 v6, v6                                       // 0000000085CC: 7E0C4106
	v_exp_f32_e32 v7, v7                                       // 0000000085D0: 7E0E4107
	v_add_f32_e64 v4, v4, 1.0                                  // 0000000085D4: D1010004 0001E504
	v_add_f32_e64 v5, v5, 1.0                                  // 0000000085DC: D1010005 0001E505
	v_add_f32_e64 v6, v6, 1.0                                  // 0000000085E4: D1010006 0001E506
	v_add_f32_e64 v7, v7, 1.0                                  // 0000000085EC: D1010007 0001E507
	v_rcp_f32_e32 v4, v4                                       // 0000000085F4: 7E084504
	v_rcp_f32_e32 v5, v5                                       // 0000000085F8: 7E0A4505
	v_rcp_f32_e32 v6, v6                                       // 0000000085FC: 7E0C4506
	v_rcp_f32_e32 v7, v7                                       // 000000008600: 7E0E4507
	v_mul_f32_e32 v84, v84, v4                                 // 000000008604: 0AA80954
	v_mul_f32_e32 v85, v85, v5                                 // 000000008608: 0AAA0B55
	v_mul_f32_e32 v86, v86, v6                                 // 00000000860C: 0AAC0D56
	v_mul_f32_e32 v87, v87, v7                                 // 000000008610: 0AAE0F57
	v_mul_f32_e32 v84, v84, v148                               // 000000008614: 0AA92954
	v_mul_f32_e32 v85, v85, v149                               // 000000008618: 0AAB2B55
	v_mul_f32_e32 v86, v86, v150                               // 00000000861C: 0AAD2D56
	v_mul_f32_e32 v87, v87, v151                               // 000000008620: 0AAF2F57
	v_mul_f32_e64 v4, -v88, s6                                 // 000000008624: D1050004 20000D58
	v_mul_f32_e64 v5, -v89, s6                                 // 00000000862C: D1050005 20000D59
	v_mul_f32_e64 v6, -v90, s6                                 // 000000008634: D1050006 20000D5A
	v_mul_f32_e64 v7, -v91, s6                                 // 00000000863C: D1050007 20000D5B
	v_exp_f32_e32 v4, v4                                       // 000000008644: 7E084104
	v_exp_f32_e32 v5, v5                                       // 000000008648: 7E0A4105
	v_exp_f32_e32 v6, v6                                       // 00000000864C: 7E0C4106
	v_exp_f32_e32 v7, v7                                       // 000000008650: 7E0E4107
	v_add_f32_e64 v4, v4, 1.0                                  // 000000008654: D1010004 0001E504
	v_add_f32_e64 v5, v5, 1.0                                  // 00000000865C: D1010005 0001E505
	v_add_f32_e64 v6, v6, 1.0                                  // 000000008664: D1010006 0001E506
	v_add_f32_e64 v7, v7, 1.0                                  // 00000000866C: D1010007 0001E507
	v_rcp_f32_e32 v4, v4                                       // 000000008674: 7E084504
	v_rcp_f32_e32 v5, v5                                       // 000000008678: 7E0A4505
	v_rcp_f32_e32 v6, v6                                       // 00000000867C: 7E0C4506
	v_rcp_f32_e32 v7, v7                                       // 000000008680: 7E0E4507
	v_mul_f32_e32 v88, v88, v4                                 // 000000008684: 0AB00958
	v_mul_f32_e32 v89, v89, v5                                 // 000000008688: 0AB20B59
	v_mul_f32_e32 v90, v90, v6                                 // 00000000868C: 0AB40D5A
	v_mul_f32_e32 v91, v91, v7                                 // 000000008690: 0AB60F5B
	v_mul_f32_e32 v88, v88, v152                               // 000000008694: 0AB13158
	v_mul_f32_e32 v89, v89, v153                               // 000000008698: 0AB33359
	v_mul_f32_e32 v90, v90, v154                               // 00000000869C: 0AB5355A
	v_mul_f32_e32 v91, v91, v155                               // 0000000086A0: 0AB7375B
	v_mul_f32_e64 v4, -v92, s6                                 // 0000000086A4: D1050004 20000D5C
	v_mul_f32_e64 v5, -v93, s6                                 // 0000000086AC: D1050005 20000D5D
	v_mul_f32_e64 v6, -v94, s6                                 // 0000000086B4: D1050006 20000D5E
	v_mul_f32_e64 v7, -v95, s6                                 // 0000000086BC: D1050007 20000D5F
	v_exp_f32_e32 v4, v4                                       // 0000000086C4: 7E084104
	v_exp_f32_e32 v5, v5                                       // 0000000086C8: 7E0A4105
	v_exp_f32_e32 v6, v6                                       // 0000000086CC: 7E0C4106
	v_exp_f32_e32 v7, v7                                       // 0000000086D0: 7E0E4107
	v_add_f32_e64 v4, v4, 1.0                                  // 0000000086D4: D1010004 0001E504
	v_add_f32_e64 v5, v5, 1.0                                  // 0000000086DC: D1010005 0001E505
	v_add_f32_e64 v6, v6, 1.0                                  // 0000000086E4: D1010006 0001E506
	v_add_f32_e64 v7, v7, 1.0                                  // 0000000086EC: D1010007 0001E507
	v_rcp_f32_e32 v4, v4                                       // 0000000086F4: 7E084504
	v_rcp_f32_e32 v5, v5                                       // 0000000086F8: 7E0A4505
	v_rcp_f32_e32 v6, v6                                       // 0000000086FC: 7E0C4506
	v_rcp_f32_e32 v7, v7                                       // 000000008700: 7E0E4507
	v_mul_f32_e32 v92, v92, v4                                 // 000000008704: 0AB8095C
	v_mul_f32_e32 v93, v93, v5                                 // 000000008708: 0ABA0B5D
	v_mul_f32_e32 v94, v94, v6                                 // 00000000870C: 0ABC0D5E
	v_mul_f32_e32 v95, v95, v7                                 // 000000008710: 0ABE0F5F
	v_mul_f32_e32 v92, v92, v156                               // 000000008714: 0AB9395C
	v_mul_f32_e32 v93, v93, v157                               // 000000008718: 0ABB3B5D
	v_mul_f32_e32 v94, v94, v158                               // 00000000871C: 0ABD3D5E
	v_mul_f32_e32 v95, v95, v159                               // 000000008720: 0ABF3F5F
	v_mul_f32_e64 v4, -v96, s6                                 // 000000008724: D1050004 20000D60
	v_mul_f32_e64 v5, -v97, s6                                 // 00000000872C: D1050005 20000D61
	v_mul_f32_e64 v6, -v98, s6                                 // 000000008734: D1050006 20000D62
	v_mul_f32_e64 v7, -v99, s6                                 // 00000000873C: D1050007 20000D63
	v_exp_f32_e32 v4, v4                                       // 000000008744: 7E084104
	v_exp_f32_e32 v5, v5                                       // 000000008748: 7E0A4105
	v_exp_f32_e32 v6, v6                                       // 00000000874C: 7E0C4106
	v_exp_f32_e32 v7, v7                                       // 000000008750: 7E0E4107
	v_add_f32_e64 v4, v4, 1.0                                  // 000000008754: D1010004 0001E504
	v_add_f32_e64 v5, v5, 1.0                                  // 00000000875C: D1010005 0001E505
	v_add_f32_e64 v6, v6, 1.0                                  // 000000008764: D1010006 0001E506
	v_add_f32_e64 v7, v7, 1.0                                  // 00000000876C: D1010007 0001E507
	v_rcp_f32_e32 v4, v4                                       // 000000008774: 7E084504
	v_rcp_f32_e32 v5, v5                                       // 000000008778: 7E0A4505
	v_rcp_f32_e32 v6, v6                                       // 00000000877C: 7E0C4506
	v_rcp_f32_e32 v7, v7                                       // 000000008780: 7E0E4507
	v_mul_f32_e32 v96, v96, v4                                 // 000000008784: 0AC00960
	v_mul_f32_e32 v97, v97, v5                                 // 000000008788: 0AC20B61
	v_mul_f32_e32 v98, v98, v6                                 // 00000000878C: 0AC40D62
	v_mul_f32_e32 v99, v99, v7                                 // 000000008790: 0AC60F63
	v_mul_f32_e32 v96, v96, v160                               // 000000008794: 0AC14160
	v_mul_f32_e32 v97, v97, v161                               // 000000008798: 0AC34361
	v_mul_f32_e32 v98, v98, v162                               // 00000000879C: 0AC54562
	v_mul_f32_e32 v99, v99, v163                               // 0000000087A0: 0AC74763
	v_mul_f32_e64 v4, -v100, s6                                // 0000000087A4: D1050004 20000D64
	v_mul_f32_e64 v5, -v101, s6                                // 0000000087AC: D1050005 20000D65
	v_mul_f32_e64 v6, -v102, s6                                // 0000000087B4: D1050006 20000D66
	v_mul_f32_e64 v7, -v103, s6                                // 0000000087BC: D1050007 20000D67
	v_exp_f32_e32 v4, v4                                       // 0000000087C4: 7E084104
	v_exp_f32_e32 v5, v5                                       // 0000000087C8: 7E0A4105
	v_exp_f32_e32 v6, v6                                       // 0000000087CC: 7E0C4106
	v_exp_f32_e32 v7, v7                                       // 0000000087D0: 7E0E4107
	v_add_f32_e64 v4, v4, 1.0                                  // 0000000087D4: D1010004 0001E504
	v_add_f32_e64 v5, v5, 1.0                                  // 0000000087DC: D1010005 0001E505
	v_add_f32_e64 v6, v6, 1.0                                  // 0000000087E4: D1010006 0001E506
	v_add_f32_e64 v7, v7, 1.0                                  // 0000000087EC: D1010007 0001E507
	v_rcp_f32_e32 v4, v4                                       // 0000000087F4: 7E084504
	v_rcp_f32_e32 v5, v5                                       // 0000000087F8: 7E0A4505
	v_rcp_f32_e32 v6, v6                                       // 0000000087FC: 7E0C4506
	v_rcp_f32_e32 v7, v7                                       // 000000008800: 7E0E4507
	v_mul_f32_e32 v100, v100, v4                               // 000000008804: 0AC80964
	v_mul_f32_e32 v101, v101, v5                               // 000000008808: 0ACA0B65
	v_mul_f32_e32 v102, v102, v6                               // 00000000880C: 0ACC0D66
	v_mul_f32_e32 v103, v103, v7                               // 000000008810: 0ACE0F67
	v_mul_f32_e32 v100, v100, v164                             // 000000008814: 0AC94964
	v_mul_f32_e32 v101, v101, v165                             // 000000008818: 0ACB4B65
	v_mul_f32_e32 v102, v102, v166                             // 00000000881C: 0ACD4D66
	v_mul_f32_e32 v103, v103, v167                             // 000000008820: 0ACF4F67
	v_mul_f32_e64 v4, -v104, s6                                // 000000008824: D1050004 20000D68
	v_mul_f32_e64 v5, -v105, s6                                // 00000000882C: D1050005 20000D69
	v_mul_f32_e64 v6, -v106, s6                                // 000000008834: D1050006 20000D6A
	v_mul_f32_e64 v7, -v107, s6                                // 00000000883C: D1050007 20000D6B
	v_exp_f32_e32 v4, v4                                       // 000000008844: 7E084104
	v_exp_f32_e32 v5, v5                                       // 000000008848: 7E0A4105
	v_exp_f32_e32 v6, v6                                       // 00000000884C: 7E0C4106
	v_exp_f32_e32 v7, v7                                       // 000000008850: 7E0E4107
	v_add_f32_e64 v4, v4, 1.0                                  // 000000008854: D1010004 0001E504
	v_add_f32_e64 v5, v5, 1.0                                  // 00000000885C: D1010005 0001E505
	v_add_f32_e64 v6, v6, 1.0                                  // 000000008864: D1010006 0001E506
	v_add_f32_e64 v7, v7, 1.0                                  // 00000000886C: D1010007 0001E507
	v_rcp_f32_e32 v4, v4                                       // 000000008874: 7E084504
	v_rcp_f32_e32 v5, v5                                       // 000000008878: 7E0A4505
	v_rcp_f32_e32 v6, v6                                       // 00000000887C: 7E0C4506
	v_rcp_f32_e32 v7, v7                                       // 000000008880: 7E0E4507
	v_mul_f32_e32 v104, v104, v4                               // 000000008884: 0AD00968
	v_mul_f32_e32 v105, v105, v5                               // 000000008888: 0AD20B69
	v_mul_f32_e32 v106, v106, v6                               // 00000000888C: 0AD40D6A
	v_mul_f32_e32 v107, v107, v7                               // 000000008890: 0AD60F6B
	v_mul_f32_e32 v104, v104, v168                             // 000000008894: 0AD15168
	v_mul_f32_e32 v105, v105, v169                             // 000000008898: 0AD35369
	v_mul_f32_e32 v106, v106, v170                             // 00000000889C: 0AD5556A
	v_mul_f32_e32 v107, v107, v171                             // 0000000088A0: 0AD7576B
	v_mul_f32_e64 v4, -v108, s6                                // 0000000088A4: D1050004 20000D6C
	v_mul_f32_e64 v5, -v109, s6                                // 0000000088AC: D1050005 20000D6D
	v_mul_f32_e64 v6, -v110, s6                                // 0000000088B4: D1050006 20000D6E
	v_mul_f32_e64 v7, -v111, s6                                // 0000000088BC: D1050007 20000D6F
	v_exp_f32_e32 v4, v4                                       // 0000000088C4: 7E084104
	v_exp_f32_e32 v5, v5                                       // 0000000088C8: 7E0A4105
	v_exp_f32_e32 v6, v6                                       // 0000000088CC: 7E0C4106
	v_exp_f32_e32 v7, v7                                       // 0000000088D0: 7E0E4107
	v_add_f32_e64 v4, v4, 1.0                                  // 0000000088D4: D1010004 0001E504
	v_add_f32_e64 v5, v5, 1.0                                  // 0000000088DC: D1010005 0001E505
	v_add_f32_e64 v6, v6, 1.0                                  // 0000000088E4: D1010006 0001E506
	v_add_f32_e64 v7, v7, 1.0                                  // 0000000088EC: D1010007 0001E507
	v_rcp_f32_e32 v4, v4                                       // 0000000088F4: 7E084504
	v_rcp_f32_e32 v5, v5                                       // 0000000088F8: 7E0A4505
	v_rcp_f32_e32 v6, v6                                       // 0000000088FC: 7E0C4506
	v_rcp_f32_e32 v7, v7                                       // 000000008900: 7E0E4507
	v_mul_f32_e32 v108, v108, v4                               // 000000008904: 0AD8096C
	v_mul_f32_e32 v109, v109, v5                               // 000000008908: 0ADA0B6D
	v_mul_f32_e32 v110, v110, v6                               // 00000000890C: 0ADC0D6E
	v_mul_f32_e32 v111, v111, v7                               // 000000008910: 0ADE0F6F
	v_mul_f32_e32 v108, v108, v172                             // 000000008914: 0AD9596C
	v_mul_f32_e32 v109, v109, v173                             // 000000008918: 0ADB5B6D
	v_mul_f32_e32 v110, v110, v174                             // 00000000891C: 0ADD5D6E
	v_mul_f32_e32 v111, v111, v175                             // 000000008920: 0ADF5F6F
	v_mul_f32_e64 v4, -v112, s6                                // 000000008924: D1050004 20000D70
	v_mul_f32_e64 v5, -v113, s6                                // 00000000892C: D1050005 20000D71
	v_mul_f32_e64 v6, -v114, s6                                // 000000008934: D1050006 20000D72
	v_mul_f32_e64 v7, -v115, s6                                // 00000000893C: D1050007 20000D73
	v_exp_f32_e32 v4, v4                                       // 000000008944: 7E084104
	v_exp_f32_e32 v5, v5                                       // 000000008948: 7E0A4105
	v_exp_f32_e32 v6, v6                                       // 00000000894C: 7E0C4106
	v_exp_f32_e32 v7, v7                                       // 000000008950: 7E0E4107
	v_add_f32_e64 v4, v4, 1.0                                  // 000000008954: D1010004 0001E504
	v_add_f32_e64 v5, v5, 1.0                                  // 00000000895C: D1010005 0001E505
	v_add_f32_e64 v6, v6, 1.0                                  // 000000008964: D1010006 0001E506
	v_add_f32_e64 v7, v7, 1.0                                  // 00000000896C: D1010007 0001E507
	v_rcp_f32_e32 v4, v4                                       // 000000008974: 7E084504
	v_rcp_f32_e32 v5, v5                                       // 000000008978: 7E0A4505
	v_rcp_f32_e32 v6, v6                                       // 00000000897C: 7E0C4506
	v_rcp_f32_e32 v7, v7                                       // 000000008980: 7E0E4507
	v_mul_f32_e32 v112, v112, v4                               // 000000008984: 0AE00970
	v_mul_f32_e32 v113, v113, v5                               // 000000008988: 0AE20B71
	v_mul_f32_e32 v114, v114, v6                               // 00000000898C: 0AE40D72
	v_mul_f32_e32 v115, v115, v7                               // 000000008990: 0AE60F73
	v_mul_f32_e32 v112, v112, v176                             // 000000008994: 0AE16170
	v_mul_f32_e32 v113, v113, v177                             // 000000008998: 0AE36371
	v_mul_f32_e32 v114, v114, v178                             // 00000000899C: 0AE56572
	v_mul_f32_e32 v115, v115, v179                             // 0000000089A0: 0AE76773
	v_mul_f32_e64 v4, -v116, s6                                // 0000000089A4: D1050004 20000D74
	v_mul_f32_e64 v5, -v117, s6                                // 0000000089AC: D1050005 20000D75
	v_mul_f32_e64 v6, -v118, s6                                // 0000000089B4: D1050006 20000D76
	v_mul_f32_e64 v7, -v119, s6                                // 0000000089BC: D1050007 20000D77
	v_exp_f32_e32 v4, v4                                       // 0000000089C4: 7E084104
	v_exp_f32_e32 v5, v5                                       // 0000000089C8: 7E0A4105
	v_exp_f32_e32 v6, v6                                       // 0000000089CC: 7E0C4106
	v_exp_f32_e32 v7, v7                                       // 0000000089D0: 7E0E4107
	v_add_f32_e64 v4, v4, 1.0                                  // 0000000089D4: D1010004 0001E504
	v_add_f32_e64 v5, v5, 1.0                                  // 0000000089DC: D1010005 0001E505
	v_add_f32_e64 v6, v6, 1.0                                  // 0000000089E4: D1010006 0001E506
	v_add_f32_e64 v7, v7, 1.0                                  // 0000000089EC: D1010007 0001E507
	v_rcp_f32_e32 v4, v4                                       // 0000000089F4: 7E084504
	v_rcp_f32_e32 v5, v5                                       // 0000000089F8: 7E0A4505
	v_rcp_f32_e32 v6, v6                                       // 0000000089FC: 7E0C4506
	v_rcp_f32_e32 v7, v7                                       // 000000008A00: 7E0E4507
	v_mul_f32_e32 v116, v116, v4                               // 000000008A04: 0AE80974
	v_mul_f32_e32 v117, v117, v5                               // 000000008A08: 0AEA0B75
	v_mul_f32_e32 v118, v118, v6                               // 000000008A0C: 0AEC0D76
	v_mul_f32_e32 v119, v119, v7                               // 000000008A10: 0AEE0F77
	v_mul_f32_e32 v116, v116, v180                             // 000000008A14: 0AE96974
	v_mul_f32_e32 v117, v117, v181                             // 000000008A18: 0AEB6B75
	v_mul_f32_e32 v118, v118, v182                             // 000000008A1C: 0AED6D76
	v_mul_f32_e32 v119, v119, v183                             // 000000008A20: 0AEF6F77
	v_mul_f32_e64 v4, -v120, s6                                // 000000008A24: D1050004 20000D78
	v_mul_f32_e64 v5, -v121, s6                                // 000000008A2C: D1050005 20000D79
	v_mul_f32_e64 v6, -v122, s6                                // 000000008A34: D1050006 20000D7A
	v_mul_f32_e64 v7, -v123, s6                                // 000000008A3C: D1050007 20000D7B
	v_exp_f32_e32 v4, v4                                       // 000000008A44: 7E084104
	v_exp_f32_e32 v5, v5                                       // 000000008A48: 7E0A4105
	v_exp_f32_e32 v6, v6                                       // 000000008A4C: 7E0C4106
	v_exp_f32_e32 v7, v7                                       // 000000008A50: 7E0E4107
	v_add_f32_e64 v4, v4, 1.0                                  // 000000008A54: D1010004 0001E504
	v_add_f32_e64 v5, v5, 1.0                                  // 000000008A5C: D1010005 0001E505
	v_add_f32_e64 v6, v6, 1.0                                  // 000000008A64: D1010006 0001E506
	v_add_f32_e64 v7, v7, 1.0                                  // 000000008A6C: D1010007 0001E507
	v_rcp_f32_e32 v4, v4                                       // 000000008A74: 7E084504
	v_rcp_f32_e32 v5, v5                                       // 000000008A78: 7E0A4505
	v_rcp_f32_e32 v6, v6                                       // 000000008A7C: 7E0C4506
	v_rcp_f32_e32 v7, v7                                       // 000000008A80: 7E0E4507
	v_mul_f32_e32 v120, v120, v4                               // 000000008A84: 0AF00978
	v_mul_f32_e32 v121, v121, v5                               // 000000008A88: 0AF20B79
	v_mul_f32_e32 v122, v122, v6                               // 000000008A8C: 0AF40D7A
	v_mul_f32_e32 v123, v123, v7                               // 000000008A90: 0AF60F7B
	v_mul_f32_e32 v120, v120, v184                             // 000000008A94: 0AF17178
	v_mul_f32_e32 v121, v121, v185                             // 000000008A98: 0AF37379
	v_mul_f32_e32 v122, v122, v186                             // 000000008A9C: 0AF5757A
	v_mul_f32_e32 v123, v123, v187                             // 000000008AA0: 0AF7777B
	v_mul_f32_e64 v4, -v124, s6                                // 000000008AA4: D1050004 20000D7C
	v_mul_f32_e64 v5, -v125, s6                                // 000000008AAC: D1050005 20000D7D
	v_mul_f32_e64 v6, -v126, s6                                // 000000008AB4: D1050006 20000D7E
	v_mul_f32_e64 v7, -v127, s6                                // 000000008ABC: D1050007 20000D7F
	v_exp_f32_e32 v4, v4                                       // 000000008AC4: 7E084104
	v_exp_f32_e32 v5, v5                                       // 000000008AC8: 7E0A4105
	v_exp_f32_e32 v6, v6                                       // 000000008ACC: 7E0C4106
	v_exp_f32_e32 v7, v7                                       // 000000008AD0: 7E0E4107
	v_add_f32_e64 v4, v4, 1.0                                  // 000000008AD4: D1010004 0001E504
	v_add_f32_e64 v5, v5, 1.0                                  // 000000008ADC: D1010005 0001E505
	v_add_f32_e64 v6, v6, 1.0                                  // 000000008AE4: D1010006 0001E506
	v_add_f32_e64 v7, v7, 1.0                                  // 000000008AEC: D1010007 0001E507
	v_rcp_f32_e32 v4, v4                                       // 000000008AF4: 7E084504
	v_rcp_f32_e32 v5, v5                                       // 000000008AF8: 7E0A4505
	v_rcp_f32_e32 v6, v6                                       // 000000008AFC: 7E0C4506
	v_rcp_f32_e32 v7, v7                                       // 000000008B00: 7E0E4507
	v_mul_f32_e32 v124, v124, v4                               // 000000008B04: 0AF8097C
	v_mul_f32_e32 v125, v125, v5                               // 000000008B08: 0AFA0B7D
	v_mul_f32_e32 v126, v126, v6                               // 000000008B0C: 0AFC0D7E
	v_mul_f32_e32 v127, v127, v7                               // 000000008B10: 0AFE0F7F
	v_mul_f32_e32 v124, v124, v188                             // 000000008B14: 0AF9797C
	v_mul_f32_e32 v125, v125, v189                             // 000000008B18: 0AFB7B7D
	v_mul_f32_e32 v126, v126, v190                             // 000000008B1C: 0AFD7D7E
	v_mul_f32_e32 v127, v127, v191                             // 000000008B20: 0AFF7F7F
	v_mul_f32_e64 v4, -v128, s6                                // 000000008B24: D1050004 20000D80
	v_mul_f32_e64 v5, -v129, s6                                // 000000008B2C: D1050005 20000D81
	v_mul_f32_e64 v6, -v130, s6                                // 000000008B34: D1050006 20000D82
	v_mul_f32_e64 v7, -v131, s6                                // 000000008B3C: D1050007 20000D83
	v_exp_f32_e32 v4, v4                                       // 000000008B44: 7E084104
	v_exp_f32_e32 v5, v5                                       // 000000008B48: 7E0A4105
	v_exp_f32_e32 v6, v6                                       // 000000008B4C: 7E0C4106
	v_exp_f32_e32 v7, v7                                       // 000000008B50: 7E0E4107
	v_add_f32_e64 v4, v4, 1.0                                  // 000000008B54: D1010004 0001E504
	v_add_f32_e64 v5, v5, 1.0                                  // 000000008B5C: D1010005 0001E505
	v_add_f32_e64 v6, v6, 1.0                                  // 000000008B64: D1010006 0001E506
	v_add_f32_e64 v7, v7, 1.0                                  // 000000008B6C: D1010007 0001E507
	v_rcp_f32_e32 v4, v4                                       // 000000008B74: 7E084504
	v_rcp_f32_e32 v5, v5                                       // 000000008B78: 7E0A4505
	v_rcp_f32_e32 v6, v6                                       // 000000008B7C: 7E0C4506
	v_rcp_f32_e32 v7, v7                                       // 000000008B80: 7E0E4507
	v_mul_f32_e32 v128, v128, v4                               // 000000008B84: 0B000980
	v_mul_f32_e32 v129, v129, v5                               // 000000008B88: 0B020B81
	v_mul_f32_e32 v130, v130, v6                               // 000000008B8C: 0B040D82
	v_mul_f32_e32 v131, v131, v7                               // 000000008B90: 0B060F83
	v_mul_f32_e32 v128, v128, v192                             // 000000008B94: 0B018180
	v_mul_f32_e32 v129, v129, v193                             // 000000008B98: 0B038381
	v_mul_f32_e32 v130, v130, v194                             // 000000008B9C: 0B058582
	v_mul_f32_e32 v131, v131, v195                             // 000000008BA0: 0B078783
	v_mul_f32_e64 v4, -v132, s6                                // 000000008BA4: D1050004 20000D84
	v_mul_f32_e64 v5, -v133, s6                                // 000000008BAC: D1050005 20000D85
	v_mul_f32_e64 v6, -v134, s6                                // 000000008BB4: D1050006 20000D86
	v_mul_f32_e64 v7, -v135, s6                                // 000000008BBC: D1050007 20000D87
	v_exp_f32_e32 v4, v4                                       // 000000008BC4: 7E084104
	v_exp_f32_e32 v5, v5                                       // 000000008BC8: 7E0A4105
	v_exp_f32_e32 v6, v6                                       // 000000008BCC: 7E0C4106
	v_exp_f32_e32 v7, v7                                       // 000000008BD0: 7E0E4107
	v_add_f32_e64 v4, v4, 1.0                                  // 000000008BD4: D1010004 0001E504
	v_add_f32_e64 v5, v5, 1.0                                  // 000000008BDC: D1010005 0001E505
	v_add_f32_e64 v6, v6, 1.0                                  // 000000008BE4: D1010006 0001E506
	v_add_f32_e64 v7, v7, 1.0                                  // 000000008BEC: D1010007 0001E507
	v_rcp_f32_e32 v4, v4                                       // 000000008BF4: 7E084504
	v_rcp_f32_e32 v5, v5                                       // 000000008BF8: 7E0A4505
	v_rcp_f32_e32 v6, v6                                       // 000000008BFC: 7E0C4506
	v_rcp_f32_e32 v7, v7                                       // 000000008C00: 7E0E4507
	v_mul_f32_e32 v132, v132, v4                               // 000000008C04: 0B080984
	v_mul_f32_e32 v133, v133, v5                               // 000000008C08: 0B0A0B85
	v_mul_f32_e32 v134, v134, v6                               // 000000008C0C: 0B0C0D86
	v_mul_f32_e32 v135, v135, v7                               // 000000008C10: 0B0E0F87
	v_mul_f32_e32 v132, v132, v196                             // 000000008C14: 0B098984
	v_mul_f32_e32 v133, v133, v197                             // 000000008C18: 0B0B8B85
	v_mul_f32_e32 v134, v134, v198                             // 000000008C1C: 0B0D8D86
	v_mul_f32_e32 v135, v135, v199                             // 000000008C20: 0B0F8F87
	v_mul_f32_e64 v4, -v136, s6                                // 000000008C24: D1050004 20000D88
	v_mul_f32_e64 v5, -v137, s6                                // 000000008C2C: D1050005 20000D89
	v_mul_f32_e64 v6, -v138, s6                                // 000000008C34: D1050006 20000D8A
	v_mul_f32_e64 v7, -v139, s6                                // 000000008C3C: D1050007 20000D8B
	v_exp_f32_e32 v4, v4                                       // 000000008C44: 7E084104
	v_exp_f32_e32 v5, v5                                       // 000000008C48: 7E0A4105
	v_exp_f32_e32 v6, v6                                       // 000000008C4C: 7E0C4106
	v_exp_f32_e32 v7, v7                                       // 000000008C50: 7E0E4107
	v_add_f32_e64 v4, v4, 1.0                                  // 000000008C54: D1010004 0001E504
	v_add_f32_e64 v5, v5, 1.0                                  // 000000008C5C: D1010005 0001E505
	v_add_f32_e64 v6, v6, 1.0                                  // 000000008C64: D1010006 0001E506
	v_add_f32_e64 v7, v7, 1.0                                  // 000000008C6C: D1010007 0001E507
	v_rcp_f32_e32 v4, v4                                       // 000000008C74: 7E084504
	v_rcp_f32_e32 v5, v5                                       // 000000008C78: 7E0A4505
	v_rcp_f32_e32 v6, v6                                       // 000000008C7C: 7E0C4506
	v_rcp_f32_e32 v7, v7                                       // 000000008C80: 7E0E4507
	v_mul_f32_e32 v136, v136, v4                               // 000000008C84: 0B100988
	v_mul_f32_e32 v137, v137, v5                               // 000000008C88: 0B120B89
	v_mul_f32_e32 v138, v138, v6                               // 000000008C8C: 0B140D8A
	v_mul_f32_e32 v139, v139, v7                               // 000000008C90: 0B160F8B
	v_mul_f32_e32 v136, v136, v200                             // 000000008C94: 0B119188
	v_mul_f32_e32 v137, v137, v201                             // 000000008C98: 0B139389
	v_mul_f32_e32 v138, v138, v202                             // 000000008C9C: 0B15958A
	v_mul_f32_e32 v139, v139, v203                             // 000000008CA0: 0B17978B
	v_mul_f32_e64 v4, -v140, s6                                // 000000008CA4: D1050004 20000D8C
	v_mul_f32_e64 v5, -v141, s6                                // 000000008CAC: D1050005 20000D8D
	v_mul_f32_e64 v6, -v142, s6                                // 000000008CB4: D1050006 20000D8E
	v_mul_f32_e64 v7, -v143, s6                                // 000000008CBC: D1050007 20000D8F
	v_exp_f32_e32 v4, v4                                       // 000000008CC4: 7E084104
	v_exp_f32_e32 v5, v5                                       // 000000008CC8: 7E0A4105
	v_exp_f32_e32 v6, v6                                       // 000000008CCC: 7E0C4106
	v_exp_f32_e32 v7, v7                                       // 000000008CD0: 7E0E4107
	v_add_f32_e64 v4, v4, 1.0                                  // 000000008CD4: D1010004 0001E504
	v_add_f32_e64 v5, v5, 1.0                                  // 000000008CDC: D1010005 0001E505
	v_add_f32_e64 v6, v6, 1.0                                  // 000000008CE4: D1010006 0001E506
	v_add_f32_e64 v7, v7, 1.0                                  // 000000008CEC: D1010007 0001E507
	v_rcp_f32_e32 v4, v4                                       // 000000008CF4: 7E084504
	v_rcp_f32_e32 v5, v5                                       // 000000008CF8: 7E0A4505
	v_rcp_f32_e32 v6, v6                                       // 000000008CFC: 7E0C4506
	v_rcp_f32_e32 v7, v7                                       // 000000008D00: 7E0E4507
	v_mul_f32_e32 v140, v140, v4                               // 000000008D04: 0B18098C
	v_mul_f32_e32 v141, v141, v5                               // 000000008D08: 0B1A0B8D
	v_mul_f32_e32 v142, v142, v6                               // 000000008D0C: 0B1C0D8E
	v_mul_f32_e32 v143, v143, v7                               // 000000008D10: 0B1E0F8F
	v_mul_f32_e32 v140, v140, v204                             // 000000008D14: 0B19998C
	v_mul_f32_e32 v141, v141, v205                             // 000000008D18: 0B1B9B8D
	v_mul_f32_e32 v142, v142, v206                             // 000000008D1C: 0B1D9D8E
	v_mul_f32_e32 v143, v143, v207                             // 000000008D20: 0B1F9F8F

0000000000008d24 <label_18C9>:
	s_cmp_eq_u32 s7, 0                                         // 000000008D24: BF068007
	s_cbranch_scc0 label_18E5                                  // 000000008D28: BF84001A
	v_and_b32_e32 v4, 15, v0                                   // 000000008D2C: 2608008F
	v_lshlrev_b32_e32 v4, 2, v4                                // 000000008D30: 24080882
	buffer_load_dword v30, v4, s[12:15], 0 offen               // 000000008D34: E0501000 80031E04
	v_add_u32_e32 v4, 64, v4                                   // 000000008D3C: 680808C0
	buffer_load_dword v31, v4, s[12:15], 0 offen               // 000000008D40: E0501000 80031F04
	v_add_u32_e32 v4, 64, v4                                   // 000000008D48: 680808C0
	buffer_load_dword v32, v4, s[12:15], 0 offen               // 000000008D4C: E0501000 80032004
	v_add_u32_e32 v4, 64, v4                                   // 000000008D54: 680808C0
	buffer_load_dword v33, v4, s[12:15], 0 offen               // 000000008D58: E0501000 80032104
	v_add_u32_e32 v4, 64, v4                                   // 000000008D60: 680808C0
	buffer_load_dword v34, v4, s[12:15], 0 offen               // 000000008D64: E0501000 80032204
	v_add_u32_e32 v4, 64, v4                                   // 000000008D6C: 680808C0
	buffer_load_dword v35, v4, s[12:15], 0 offen               // 000000008D70: E0501000 80032304
	v_add_u32_e32 v4, 64, v4                                   // 000000008D78: 680808C0
	buffer_load_dword v36, v4, s[12:15], 0 offen               // 000000008D7C: E0501000 80032404
	v_add_u32_e32 v4, 64, v4                                   // 000000008D84: 680808C0
	buffer_load_dword v37, v4, s[12:15], 0 offen               // 000000008D88: E0501000 80032504
	v_add_u32_e32 v4, 64, v4                                   // 000000008D90: 680808C0

0000000000008d94 <label_18E5>:
	v_lshlrev_b32_e32 v4, 2, v0                                // 000000008D94: 24080082
	s_mul_i32 s60, 0x100, s7                                   // 000000008D98: 923C07FF 00000100
	v_add_u32_e32 v152, s60, v4                                // 000000008DA0: 6930083C
	v_and_b32_e32 v4, 15, v0                                   // 000000008DA4: 2608008F
	v_lshlrev_b32_e32 v153, 2, v4                              // 000000008DA8: 25320882
	s_waitcnt lgkmcnt(0)                                       // 000000008DAC: BF8CC07F
	s_barrier                                                  // 000000008DB0: BF8A0000
	v_mov_b32_e32 v144, 0x358637bd                             // 000000008DB4: 7F2002FF 358637BD
	v_max3_f32 v144, |v80|, |v81|, v144                        // 000000008DBC: D1D30390 0642A350
	v_max3_f32 v144, |v82|, |v83|, v144                        // 000000008DC4: D1D30390 0642A752
	v_max3_f32 v144, |v112|, |v113|, v144                      // 000000008DCC: D1D30390 0642E370
	v_max3_f32 v144, |v114|, |v115|, v144                      // 000000008DD4: D1D30390 0642E772
	ds_write_b32 v152, v144                                    // 000000008DDC: D81A0000 00009098
	s_waitcnt lgkmcnt(0)                                       // 000000008DE4: BF8CC07F
	s_barrier                                                  // 000000008DE8: BF8A0000
	ds_read_b32 v4, v153                                       // 000000008DEC: D86C0000 04000099
	ds_read_b32 v5, v153 offset:64                             // 000000008DF4: D86C0040 05000099
	ds_read_b32 v6, v153 offset:128                            // 000000008DFC: D86C0080 06000099
	ds_read_b32 v7, v153 offset:192                            // 000000008E04: D86C00C0 07000099
	ds_read_b32 v8, v153 offset:256                            // 000000008E0C: D86C0100 08000099
	ds_read_b32 v9, v153 offset:320                            // 000000008E14: D86C0140 09000099
	ds_read_b32 v10, v153 offset:384                           // 000000008E1C: D86C0180 0A000099
	ds_read_b32 v11, v153 offset:448                           // 000000008E24: D86C01C0 0B000099
	ds_read_b32 v12, v153 offset:512                           // 000000008E2C: D86C0200 0C000099
	ds_read_b32 v13, v153 offset:576                           // 000000008E34: D86C0240 0D000099
	ds_read_b32 v14, v153 offset:640                           // 000000008E3C: D86C0280 0E000099
	ds_read_b32 v15, v153 offset:704                           // 000000008E44: D86C02C0 0F000099
	ds_read_b32 v16, v153 offset:768                           // 000000008E4C: D86C0300 10000099
	ds_read_b32 v17, v153 offset:832                           // 000000008E54: D86C0340 11000099
	ds_read_b32 v18, v153 offset:896                           // 000000008E5C: D86C0380 12000099
	ds_read_b32 v19, v153 offset:960                           // 000000008E64: D86C03C0 13000099
	s_waitcnt lgkmcnt(0)                                       // 000000008E6C: BF8CC07F
	s_barrier                                                  // 000000008E70: BF8A0000
	v_max3_f32 v144, |v4|, |v5|, v144                          // 000000008E74: D1D30390 06420B04
	v_max3_f32 v144, |v6|, |v7|, v144                          // 000000008E7C: D1D30390 06420F06
	v_max3_f32 v144, |v8|, |v9|, v144                          // 000000008E84: D1D30390 06421308
	v_max3_f32 v144, |v10|, |v11|, v144                        // 000000008E8C: D1D30390 0642170A
	v_max3_f32 v144, |v12|, |v13|, v144                        // 000000008E94: D1D30390 06421B0C
	v_max3_f32 v144, |v14|, |v15|, v144                        // 000000008E9C: D1D30390 06421F0E
	v_max3_f32 v144, |v16|, |v17|, v144                        // 000000008EA4: D1D30390 06422310
	v_max3_f32 v144, |v18|, |v19|, v144                        // 000000008EAC: D1D30390 06422712
	v_rcp_f32_e32 v144, v144                                   // 000000008EB4: 7F204590
	v_mov_b32_e32 v4, 0x43700000                               // 000000008EB8: 7E0802FF 43700000
	v_mul_f32_e32 v144, v4, v144                               // 000000008EC0: 0B212104
	v_mov_b32_e32 v4, v144                                     // 000000008EC4: 7E080390
	v_mov_b32_e32 v5, v4                                       // 000000008EC8: 7E0A0304
	v_pk_mul_f32 v[80:81], v[4:5], v[80:81]                    // 000000008ECC: D3B14050 1802A104
	v_pk_mul_f32 v[82:83], v[4:5], v[82:83]                    // 000000008ED4: D3B14052 1802A504
	v_cvt_pk_fp8_f32 v80, v80, v81                             // 000000008EDC: D2A20050 0002A350
	v_cvt_pk_fp8_f32 v80, v82, v83 op_sel:[0,0,1]              // 000000008EE4: D2A24050 0002A752
	v_pk_mul_f32 v[112:113], v[4:5], v[112:113]                // 000000008EEC: D3B14070 1802E104
	v_pk_mul_f32 v[114:115], v[4:5], v[114:115]                // 000000008EF4: D3B14072 1802E504
	v_cvt_pk_fp8_f32 v112, v112, v113                          // 000000008EFC: D2A20070 0002E370
	v_cvt_pk_fp8_f32 v112, v114, v115 op_sel:[0,0,1]           // 000000008F04: D2A24070 0002E772
	v_rcp_f32_e32 v144, v144                                   // 000000008F0C: 7F204590
	v_mov_b32_e32 v145, 0x358637bd                             // 000000008F10: 7F2202FF 358637BD
	v_max3_f32 v145, |v84|, |v85|, v145                        // 000000008F18: D1D30391 0646AB54
	v_max3_f32 v145, |v86|, |v87|, v145                        // 000000008F20: D1D30391 0646AF56
	v_max3_f32 v145, |v116|, |v117|, v145                      // 000000008F28: D1D30391 0646EB74
	v_max3_f32 v145, |v118|, |v119|, v145                      // 000000008F30: D1D30391 0646EF76
	ds_write_b32 v152, v145                                    // 000000008F38: D81A0000 00009198
	s_waitcnt lgkmcnt(0)                                       // 000000008F40: BF8CC07F
	s_barrier                                                  // 000000008F44: BF8A0000
	ds_read_b32 v4, v153                                       // 000000008F48: D86C0000 04000099
	ds_read_b32 v5, v153 offset:64                             // 000000008F50: D86C0040 05000099
	ds_read_b32 v6, v153 offset:128                            // 000000008F58: D86C0080 06000099
	ds_read_b32 v7, v153 offset:192                            // 000000008F60: D86C00C0 07000099
	ds_read_b32 v8, v153 offset:256                            // 000000008F68: D86C0100 08000099
	ds_read_b32 v9, v153 offset:320                            // 000000008F70: D86C0140 09000099
	ds_read_b32 v10, v153 offset:384                           // 000000008F78: D86C0180 0A000099
	ds_read_b32 v11, v153 offset:448                           // 000000008F80: D86C01C0 0B000099
	ds_read_b32 v12, v153 offset:512                           // 000000008F88: D86C0200 0C000099
	ds_read_b32 v13, v153 offset:576                           // 000000008F90: D86C0240 0D000099
	ds_read_b32 v14, v153 offset:640                           // 000000008F98: D86C0280 0E000099
	ds_read_b32 v15, v153 offset:704                           // 000000008FA0: D86C02C0 0F000099
	ds_read_b32 v16, v153 offset:768                           // 000000008FA8: D86C0300 10000099
	ds_read_b32 v17, v153 offset:832                           // 000000008FB0: D86C0340 11000099
	ds_read_b32 v18, v153 offset:896                           // 000000008FB8: D86C0380 12000099
	ds_read_b32 v19, v153 offset:960                           // 000000008FC0: D86C03C0 13000099
	s_waitcnt lgkmcnt(0)                                       // 000000008FC8: BF8CC07F
	s_barrier                                                  // 000000008FCC: BF8A0000
	v_max3_f32 v145, |v4|, |v5|, v145                          // 000000008FD0: D1D30391 06460B04
	v_max3_f32 v145, |v6|, |v7|, v145                          // 000000008FD8: D1D30391 06460F06
	v_max3_f32 v145, |v8|, |v9|, v145                          // 000000008FE0: D1D30391 06461308
	v_max3_f32 v145, |v10|, |v11|, v145                        // 000000008FE8: D1D30391 0646170A
	v_max3_f32 v145, |v12|, |v13|, v145                        // 000000008FF0: D1D30391 06461B0C
	v_max3_f32 v145, |v14|, |v15|, v145                        // 000000008FF8: D1D30391 06461F0E
	v_max3_f32 v145, |v16|, |v17|, v145                        // 000000009000: D1D30391 06462310
	v_max3_f32 v145, |v18|, |v19|, v145                        // 000000009008: D1D30391 06462712
	v_rcp_f32_e32 v145, v145                                   // 000000009010: 7F224591
	v_mov_b32_e32 v4, 0x43700000                               // 000000009014: 7E0802FF 43700000
	v_mul_f32_e32 v145, v4, v145                               // 00000000901C: 0B232304
	v_mov_b32_e32 v4, v145                                     // 000000009020: 7E080391
	v_mov_b32_e32 v5, v4                                       // 000000009024: 7E0A0304
	v_pk_mul_f32 v[84:85], v[4:5], v[84:85]                    // 000000009028: D3B14054 1802A904
	v_pk_mul_f32 v[86:87], v[4:5], v[86:87]                    // 000000009030: D3B14056 1802AD04
	v_cvt_pk_fp8_f32 v84, v84, v85                             // 000000009038: D2A20054 0002AB54
	v_cvt_pk_fp8_f32 v84, v86, v87 op_sel:[0,0,1]              // 000000009040: D2A24054 0002AF56
	v_pk_mul_f32 v[116:117], v[4:5], v[116:117]                // 000000009048: D3B14074 1802E904
	v_pk_mul_f32 v[118:119], v[4:5], v[118:119]                // 000000009050: D3B14076 1802ED04
	v_cvt_pk_fp8_f32 v116, v116, v117                          // 000000009058: D2A20074 0002EB74
	v_cvt_pk_fp8_f32 v116, v118, v119 op_sel:[0,0,1]           // 000000009060: D2A24074 0002EF76
	v_rcp_f32_e32 v145, v145                                   // 000000009068: 7F224591
	v_mov_b32_e32 v146, 0x358637bd                             // 00000000906C: 7F2402FF 358637BD
	v_max3_f32 v146, |v88|, |v89|, v146                        // 000000009074: D1D30392 064AB358
	v_max3_f32 v146, |v90|, |v91|, v146                        // 00000000907C: D1D30392 064AB75A
	v_max3_f32 v146, |v120|, |v121|, v146                      // 000000009084: D1D30392 064AF378
	v_max3_f32 v146, |v122|, |v123|, v146                      // 00000000908C: D1D30392 064AF77A
	ds_write_b32 v152, v146                                    // 000000009094: D81A0000 00009298
	s_waitcnt lgkmcnt(0)                                       // 00000000909C: BF8CC07F
	s_barrier                                                  // 0000000090A0: BF8A0000
	ds_read_b32 v4, v153                                       // 0000000090A4: D86C0000 04000099
	ds_read_b32 v5, v153 offset:64                             // 0000000090AC: D86C0040 05000099
	ds_read_b32 v6, v153 offset:128                            // 0000000090B4: D86C0080 06000099
	ds_read_b32 v7, v153 offset:192                            // 0000000090BC: D86C00C0 07000099
	ds_read_b32 v8, v153 offset:256                            // 0000000090C4: D86C0100 08000099
	ds_read_b32 v9, v153 offset:320                            // 0000000090CC: D86C0140 09000099
	ds_read_b32 v10, v153 offset:384                           // 0000000090D4: D86C0180 0A000099
	ds_read_b32 v11, v153 offset:448                           // 0000000090DC: D86C01C0 0B000099
	ds_read_b32 v12, v153 offset:512                           // 0000000090E4: D86C0200 0C000099
	ds_read_b32 v13, v153 offset:576                           // 0000000090EC: D86C0240 0D000099
	ds_read_b32 v14, v153 offset:640                           // 0000000090F4: D86C0280 0E000099
	ds_read_b32 v15, v153 offset:704                           // 0000000090FC: D86C02C0 0F000099
	ds_read_b32 v16, v153 offset:768                           // 000000009104: D86C0300 10000099
	ds_read_b32 v17, v153 offset:832                           // 00000000910C: D86C0340 11000099
	ds_read_b32 v18, v153 offset:896                           // 000000009114: D86C0380 12000099
	ds_read_b32 v19, v153 offset:960                           // 00000000911C: D86C03C0 13000099
	s_waitcnt lgkmcnt(0)                                       // 000000009124: BF8CC07F
	s_barrier                                                  // 000000009128: BF8A0000
	v_max3_f32 v146, |v4|, |v5|, v146                          // 00000000912C: D1D30392 064A0B04
	v_max3_f32 v146, |v6|, |v7|, v146                          // 000000009134: D1D30392 064A0F06
	v_max3_f32 v146, |v8|, |v9|, v146                          // 00000000913C: D1D30392 064A1308
	v_max3_f32 v146, |v10|, |v11|, v146                        // 000000009144: D1D30392 064A170A
	v_max3_f32 v146, |v12|, |v13|, v146                        // 00000000914C: D1D30392 064A1B0C
	v_max3_f32 v146, |v14|, |v15|, v146                        // 000000009154: D1D30392 064A1F0E
	v_max3_f32 v146, |v16|, |v17|, v146                        // 00000000915C: D1D30392 064A2310
	v_max3_f32 v146, |v18|, |v19|, v146                        // 000000009164: D1D30392 064A2712
	v_rcp_f32_e32 v146, v146                                   // 00000000916C: 7F244592
	v_mov_b32_e32 v4, 0x43700000                               // 000000009170: 7E0802FF 43700000
	v_mul_f32_e32 v146, v4, v146                               // 000000009178: 0B252504
	v_mov_b32_e32 v4, v146                                     // 00000000917C: 7E080392
	v_mov_b32_e32 v5, v4                                       // 000000009180: 7E0A0304
	v_pk_mul_f32 v[88:89], v[4:5], v[88:89]                    // 000000009184: D3B14058 1802B104
	v_pk_mul_f32 v[90:91], v[4:5], v[90:91]                    // 00000000918C: D3B1405A 1802B504
	v_cvt_pk_fp8_f32 v88, v88, v89                             // 000000009194: D2A20058 0002B358
	v_cvt_pk_fp8_f32 v88, v90, v91 op_sel:[0,0,1]              // 00000000919C: D2A24058 0002B75A
	v_pk_mul_f32 v[120:121], v[4:5], v[120:121]                // 0000000091A4: D3B14078 1802F104
	v_pk_mul_f32 v[122:123], v[4:5], v[122:123]                // 0000000091AC: D3B1407A 1802F504
	v_cvt_pk_fp8_f32 v120, v120, v121                          // 0000000091B4: D2A20078 0002F378
	v_cvt_pk_fp8_f32 v120, v122, v123 op_sel:[0,0,1]           // 0000000091BC: D2A24078 0002F77A
	v_rcp_f32_e32 v146, v146                                   // 0000000091C4: 7F244592
	v_mov_b32_e32 v147, 0x358637bd                             // 0000000091C8: 7F2602FF 358637BD
	v_max3_f32 v147, |v92|, |v93|, v147                        // 0000000091D0: D1D30393 064EBB5C
	v_max3_f32 v147, |v94|, |v95|, v147                        // 0000000091D8: D1D30393 064EBF5E
	v_max3_f32 v147, |v124|, |v125|, v147                      // 0000000091E0: D1D30393 064EFB7C
	v_max3_f32 v147, |v126|, |v127|, v147                      // 0000000091E8: D1D30393 064EFF7E
	ds_write_b32 v152, v147                                    // 0000000091F0: D81A0000 00009398
	s_waitcnt lgkmcnt(0)                                       // 0000000091F8: BF8CC07F
	s_barrier                                                  // 0000000091FC: BF8A0000
	ds_read_b32 v4, v153                                       // 000000009200: D86C0000 04000099
	ds_read_b32 v5, v153 offset:64                             // 000000009208: D86C0040 05000099
	ds_read_b32 v6, v153 offset:128                            // 000000009210: D86C0080 06000099
	ds_read_b32 v7, v153 offset:192                            // 000000009218: D86C00C0 07000099
	ds_read_b32 v8, v153 offset:256                            // 000000009220: D86C0100 08000099
	ds_read_b32 v9, v153 offset:320                            // 000000009228: D86C0140 09000099
	ds_read_b32 v10, v153 offset:384                           // 000000009230: D86C0180 0A000099
	ds_read_b32 v11, v153 offset:448                           // 000000009238: D86C01C0 0B000099
	ds_read_b32 v12, v153 offset:512                           // 000000009240: D86C0200 0C000099
	ds_read_b32 v13, v153 offset:576                           // 000000009248: D86C0240 0D000099
	ds_read_b32 v14, v153 offset:640                           // 000000009250: D86C0280 0E000099
	ds_read_b32 v15, v153 offset:704                           // 000000009258: D86C02C0 0F000099
	ds_read_b32 v16, v153 offset:768                           // 000000009260: D86C0300 10000099
	ds_read_b32 v17, v153 offset:832                           // 000000009268: D86C0340 11000099
	ds_read_b32 v18, v153 offset:896                           // 000000009270: D86C0380 12000099
	ds_read_b32 v19, v153 offset:960                           // 000000009278: D86C03C0 13000099
	s_waitcnt lgkmcnt(0)                                       // 000000009280: BF8CC07F
	s_barrier                                                  // 000000009284: BF8A0000
	v_max3_f32 v147, |v4|, |v5|, v147                          // 000000009288: D1D30393 064E0B04
	v_max3_f32 v147, |v6|, |v7|, v147                          // 000000009290: D1D30393 064E0F06
	v_max3_f32 v147, |v8|, |v9|, v147                          // 000000009298: D1D30393 064E1308
	v_max3_f32 v147, |v10|, |v11|, v147                        // 0000000092A0: D1D30393 064E170A
	v_max3_f32 v147, |v12|, |v13|, v147                        // 0000000092A8: D1D30393 064E1B0C
	v_max3_f32 v147, |v14|, |v15|, v147                        // 0000000092B0: D1D30393 064E1F0E
	v_max3_f32 v147, |v16|, |v17|, v147                        // 0000000092B8: D1D30393 064E2310
	v_max3_f32 v147, |v18|, |v19|, v147                        // 0000000092C0: D1D30393 064E2712
	v_rcp_f32_e32 v147, v147                                   // 0000000092C8: 7F264593
	v_mov_b32_e32 v4, 0x43700000                               // 0000000092CC: 7E0802FF 43700000
	v_mul_f32_e32 v147, v4, v147                               // 0000000092D4: 0B272704
	v_mov_b32_e32 v4, v147                                     // 0000000092D8: 7E080393
	v_mov_b32_e32 v5, v4                                       // 0000000092DC: 7E0A0304
	v_pk_mul_f32 v[92:93], v[4:5], v[92:93]                    // 0000000092E0: D3B1405C 1802B904
	v_pk_mul_f32 v[94:95], v[4:5], v[94:95]                    // 0000000092E8: D3B1405E 1802BD04
	v_cvt_pk_fp8_f32 v92, v92, v93                             // 0000000092F0: D2A2005C 0002BB5C
	v_cvt_pk_fp8_f32 v92, v94, v95 op_sel:[0,0,1]              // 0000000092F8: D2A2405C 0002BF5E
	v_pk_mul_f32 v[124:125], v[4:5], v[124:125]                // 000000009300: D3B1407C 1802F904
	v_pk_mul_f32 v[126:127], v[4:5], v[126:127]                // 000000009308: D3B1407E 1802FD04
	v_cvt_pk_fp8_f32 v124, v124, v125                          // 000000009310: D2A2007C 0002FB7C
	v_cvt_pk_fp8_f32 v124, v126, v127 op_sel:[0,0,1]           // 000000009318: D2A2407C 0002FF7E
	v_rcp_f32_e32 v147, v147                                   // 000000009320: 7F264593
	v_mov_b32_e32 v148, 0x358637bd                             // 000000009324: 7F2802FF 358637BD
	v_max3_f32 v148, |v96|, |v97|, v148                        // 00000000932C: D1D30394 0652C360
	v_max3_f32 v148, |v98|, |v99|, v148                        // 000000009334: D1D30394 0652C762
	v_max3_f32 v148, |v128|, |v129|, v148                      // 00000000933C: D1D30394 06530380
	v_max3_f32 v148, |v130|, |v131|, v148                      // 000000009344: D1D30394 06530782
	ds_write_b32 v152, v148                                    // 00000000934C: D81A0000 00009498
	s_waitcnt lgkmcnt(0)                                       // 000000009354: BF8CC07F
	s_barrier                                                  // 000000009358: BF8A0000
	ds_read_b32 v4, v153                                       // 00000000935C: D86C0000 04000099
	ds_read_b32 v5, v153 offset:64                             // 000000009364: D86C0040 05000099
	ds_read_b32 v6, v153 offset:128                            // 00000000936C: D86C0080 06000099
	ds_read_b32 v7, v153 offset:192                            // 000000009374: D86C00C0 07000099
	ds_read_b32 v8, v153 offset:256                            // 00000000937C: D86C0100 08000099
	ds_read_b32 v9, v153 offset:320                            // 000000009384: D86C0140 09000099
	ds_read_b32 v10, v153 offset:384                           // 00000000938C: D86C0180 0A000099
	ds_read_b32 v11, v153 offset:448                           // 000000009394: D86C01C0 0B000099
	ds_read_b32 v12, v153 offset:512                           // 00000000939C: D86C0200 0C000099
	ds_read_b32 v13, v153 offset:576                           // 0000000093A4: D86C0240 0D000099
	ds_read_b32 v14, v153 offset:640                           // 0000000093AC: D86C0280 0E000099
	ds_read_b32 v15, v153 offset:704                           // 0000000093B4: D86C02C0 0F000099
	ds_read_b32 v16, v153 offset:768                           // 0000000093BC: D86C0300 10000099
	ds_read_b32 v17, v153 offset:832                           // 0000000093C4: D86C0340 11000099
	ds_read_b32 v18, v153 offset:896                           // 0000000093CC: D86C0380 12000099
	ds_read_b32 v19, v153 offset:960                           // 0000000093D4: D86C03C0 13000099
	s_waitcnt lgkmcnt(0)                                       // 0000000093DC: BF8CC07F
	s_barrier                                                  // 0000000093E0: BF8A0000
	v_max3_f32 v148, |v4|, |v5|, v148                          // 0000000093E4: D1D30394 06520B04
	v_max3_f32 v148, |v6|, |v7|, v148                          // 0000000093EC: D1D30394 06520F06
	v_max3_f32 v148, |v8|, |v9|, v148                          // 0000000093F4: D1D30394 06521308
	v_max3_f32 v148, |v10|, |v11|, v148                        // 0000000093FC: D1D30394 0652170A
	v_max3_f32 v148, |v12|, |v13|, v148                        // 000000009404: D1D30394 06521B0C
	v_max3_f32 v148, |v14|, |v15|, v148                        // 00000000940C: D1D30394 06521F0E
	v_max3_f32 v148, |v16|, |v17|, v148                        // 000000009414: D1D30394 06522310
	v_max3_f32 v148, |v18|, |v19|, v148                        // 00000000941C: D1D30394 06522712
	v_rcp_f32_e32 v148, v148                                   // 000000009424: 7F284594
	v_mov_b32_e32 v4, 0x43700000                               // 000000009428: 7E0802FF 43700000
	v_mul_f32_e32 v148, v4, v148                               // 000000009430: 0B292904
	v_mov_b32_e32 v4, v148                                     // 000000009434: 7E080394
	v_mov_b32_e32 v5, v4                                       // 000000009438: 7E0A0304
	v_pk_mul_f32 v[96:97], v[4:5], v[96:97]                    // 00000000943C: D3B14060 1802C104
	v_pk_mul_f32 v[98:99], v[4:5], v[98:99]                    // 000000009444: D3B14062 1802C504
	v_cvt_pk_fp8_f32 v96, v96, v97                             // 00000000944C: D2A20060 0002C360
	v_cvt_pk_fp8_f32 v96, v98, v99 op_sel:[0,0,1]              // 000000009454: D2A24060 0002C762
	v_pk_mul_f32 v[128:129], v[4:5], v[128:129]                // 00000000945C: D3B14080 18030104
	v_pk_mul_f32 v[130:131], v[4:5], v[130:131]                // 000000009464: D3B14082 18030504
	v_cvt_pk_fp8_f32 v128, v128, v129                          // 00000000946C: D2A20080 00030380
	v_cvt_pk_fp8_f32 v128, v130, v131 op_sel:[0,0,1]           // 000000009474: D2A24080 00030782
	v_rcp_f32_e32 v148, v148                                   // 00000000947C: 7F284594
	v_mov_b32_e32 v149, 0x358637bd                             // 000000009480: 7F2A02FF 358637BD
	v_max3_f32 v149, |v100|, |v101|, v149                      // 000000009488: D1D30395 0656CB64
	v_max3_f32 v149, |v102|, |v103|, v149                      // 000000009490: D1D30395 0656CF66
	v_max3_f32 v149, |v132|, |v133|, v149                      // 000000009498: D1D30395 06570B84
	v_max3_f32 v149, |v134|, |v135|, v149                      // 0000000094A0: D1D30395 06570F86
	ds_write_b32 v152, v149                                    // 0000000094A8: D81A0000 00009598
	s_waitcnt lgkmcnt(0)                                       // 0000000094B0: BF8CC07F
	s_barrier                                                  // 0000000094B4: BF8A0000
	ds_read_b32 v4, v153                                       // 0000000094B8: D86C0000 04000099
	ds_read_b32 v5, v153 offset:64                             // 0000000094C0: D86C0040 05000099
	ds_read_b32 v6, v153 offset:128                            // 0000000094C8: D86C0080 06000099
	ds_read_b32 v7, v153 offset:192                            // 0000000094D0: D86C00C0 07000099
	ds_read_b32 v8, v153 offset:256                            // 0000000094D8: D86C0100 08000099
	ds_read_b32 v9, v153 offset:320                            // 0000000094E0: D86C0140 09000099
	ds_read_b32 v10, v153 offset:384                           // 0000000094E8: D86C0180 0A000099
	ds_read_b32 v11, v153 offset:448                           // 0000000094F0: D86C01C0 0B000099
	ds_read_b32 v12, v153 offset:512                           // 0000000094F8: D86C0200 0C000099
	ds_read_b32 v13, v153 offset:576                           // 000000009500: D86C0240 0D000099
	ds_read_b32 v14, v153 offset:640                           // 000000009508: D86C0280 0E000099
	ds_read_b32 v15, v153 offset:704                           // 000000009510: D86C02C0 0F000099
	ds_read_b32 v16, v153 offset:768                           // 000000009518: D86C0300 10000099
	ds_read_b32 v17, v153 offset:832                           // 000000009520: D86C0340 11000099
	ds_read_b32 v18, v153 offset:896                           // 000000009528: D86C0380 12000099
	ds_read_b32 v19, v153 offset:960                           // 000000009530: D86C03C0 13000099
	s_waitcnt lgkmcnt(0)                                       // 000000009538: BF8CC07F
	s_barrier                                                  // 00000000953C: BF8A0000
	v_max3_f32 v149, |v4|, |v5|, v149                          // 000000009540: D1D30395 06560B04
	v_max3_f32 v149, |v6|, |v7|, v149                          // 000000009548: D1D30395 06560F06
	v_max3_f32 v149, |v8|, |v9|, v149                          // 000000009550: D1D30395 06561308
	v_max3_f32 v149, |v10|, |v11|, v149                        // 000000009558: D1D30395 0656170A
	v_max3_f32 v149, |v12|, |v13|, v149                        // 000000009560: D1D30395 06561B0C
	v_max3_f32 v149, |v14|, |v15|, v149                        // 000000009568: D1D30395 06561F0E
	v_max3_f32 v149, |v16|, |v17|, v149                        // 000000009570: D1D30395 06562310
	v_max3_f32 v149, |v18|, |v19|, v149                        // 000000009578: D1D30395 06562712
	v_rcp_f32_e32 v149, v149                                   // 000000009580: 7F2A4595
	v_mov_b32_e32 v4, 0x43700000                               // 000000009584: 7E0802FF 43700000
	v_mul_f32_e32 v149, v4, v149                               // 00000000958C: 0B2B2B04
	v_mov_b32_e32 v4, v149                                     // 000000009590: 7E080395
	v_mov_b32_e32 v5, v4                                       // 000000009594: 7E0A0304
	v_pk_mul_f32 v[100:101], v[4:5], v[100:101]                // 000000009598: D3B14064 1802C904
	v_pk_mul_f32 v[102:103], v[4:5], v[102:103]                // 0000000095A0: D3B14066 1802CD04
	v_cvt_pk_fp8_f32 v100, v100, v101                          // 0000000095A8: D2A20064 0002CB64
	v_cvt_pk_fp8_f32 v100, v102, v103 op_sel:[0,0,1]           // 0000000095B0: D2A24064 0002CF66
	v_pk_mul_f32 v[132:133], v[4:5], v[132:133]                // 0000000095B8: D3B14084 18030904
	v_pk_mul_f32 v[134:135], v[4:5], v[134:135]                // 0000000095C0: D3B14086 18030D04
	v_cvt_pk_fp8_f32 v132, v132, v133                          // 0000000095C8: D2A20084 00030B84
	v_cvt_pk_fp8_f32 v132, v134, v135 op_sel:[0,0,1]           // 0000000095D0: D2A24084 00030F86
	v_rcp_f32_e32 v149, v149                                   // 0000000095D8: 7F2A4595
	v_mov_b32_e32 v150, 0x358637bd                             // 0000000095DC: 7F2C02FF 358637BD
	v_max3_f32 v150, |v104|, |v105|, v150                      // 0000000095E4: D1D30396 065AD368
	v_max3_f32 v150, |v106|, |v107|, v150                      // 0000000095EC: D1D30396 065AD76A
	v_max3_f32 v150, |v136|, |v137|, v150                      // 0000000095F4: D1D30396 065B1388
	v_max3_f32 v150, |v138|, |v139|, v150                      // 0000000095FC: D1D30396 065B178A
	ds_write_b32 v152, v150                                    // 000000009604: D81A0000 00009698
	s_waitcnt lgkmcnt(0)                                       // 00000000960C: BF8CC07F
	s_barrier                                                  // 000000009610: BF8A0000
	ds_read_b32 v4, v153                                       // 000000009614: D86C0000 04000099
	ds_read_b32 v5, v153 offset:64                             // 00000000961C: D86C0040 05000099
	ds_read_b32 v6, v153 offset:128                            // 000000009624: D86C0080 06000099
	ds_read_b32 v7, v153 offset:192                            // 00000000962C: D86C00C0 07000099
	ds_read_b32 v8, v153 offset:256                            // 000000009634: D86C0100 08000099
	ds_read_b32 v9, v153 offset:320                            // 00000000963C: D86C0140 09000099
	ds_read_b32 v10, v153 offset:384                           // 000000009644: D86C0180 0A000099
	ds_read_b32 v11, v153 offset:448                           // 00000000964C: D86C01C0 0B000099
	ds_read_b32 v12, v153 offset:512                           // 000000009654: D86C0200 0C000099
	ds_read_b32 v13, v153 offset:576                           // 00000000965C: D86C0240 0D000099
	ds_read_b32 v14, v153 offset:640                           // 000000009664: D86C0280 0E000099
	ds_read_b32 v15, v153 offset:704                           // 00000000966C: D86C02C0 0F000099
	ds_read_b32 v16, v153 offset:768                           // 000000009674: D86C0300 10000099
	ds_read_b32 v17, v153 offset:832                           // 00000000967C: D86C0340 11000099
	ds_read_b32 v18, v153 offset:896                           // 000000009684: D86C0380 12000099
	ds_read_b32 v19, v153 offset:960                           // 00000000968C: D86C03C0 13000099
	s_waitcnt lgkmcnt(0)                                       // 000000009694: BF8CC07F
	s_barrier                                                  // 000000009698: BF8A0000
	v_max3_f32 v150, |v4|, |v5|, v150                          // 00000000969C: D1D30396 065A0B04
	v_max3_f32 v150, |v6|, |v7|, v150                          // 0000000096A4: D1D30396 065A0F06
	v_max3_f32 v150, |v8|, |v9|, v150                          // 0000000096AC: D1D30396 065A1308
	v_max3_f32 v150, |v10|, |v11|, v150                        // 0000000096B4: D1D30396 065A170A
	v_max3_f32 v150, |v12|, |v13|, v150                        // 0000000096BC: D1D30396 065A1B0C
	v_max3_f32 v150, |v14|, |v15|, v150                        // 0000000096C4: D1D30396 065A1F0E
	v_max3_f32 v150, |v16|, |v17|, v150                        // 0000000096CC: D1D30396 065A2310
	v_max3_f32 v150, |v18|, |v19|, v150                        // 0000000096D4: D1D30396 065A2712
	v_rcp_f32_e32 v150, v150                                   // 0000000096DC: 7F2C4596
	v_mov_b32_e32 v4, 0x43700000                               // 0000000096E0: 7E0802FF 43700000
	v_mul_f32_e32 v150, v4, v150                               // 0000000096E8: 0B2D2D04
	v_mov_b32_e32 v4, v150                                     // 0000000096EC: 7E080396
	v_mov_b32_e32 v5, v4                                       // 0000000096F0: 7E0A0304
	v_pk_mul_f32 v[104:105], v[4:5], v[104:105]                // 0000000096F4: D3B14068 1802D104
	v_pk_mul_f32 v[106:107], v[4:5], v[106:107]                // 0000000096FC: D3B1406A 1802D504
	v_cvt_pk_fp8_f32 v104, v104, v105                          // 000000009704: D2A20068 0002D368
	v_cvt_pk_fp8_f32 v104, v106, v107 op_sel:[0,0,1]           // 00000000970C: D2A24068 0002D76A
	v_pk_mul_f32 v[136:137], v[4:5], v[136:137]                // 000000009714: D3B14088 18031104
	v_pk_mul_f32 v[138:139], v[4:5], v[138:139]                // 00000000971C: D3B1408A 18031504
	v_cvt_pk_fp8_f32 v136, v136, v137                          // 000000009724: D2A20088 00031388
	v_cvt_pk_fp8_f32 v136, v138, v139 op_sel:[0,0,1]           // 00000000972C: D2A24088 0003178A
	v_rcp_f32_e32 v150, v150                                   // 000000009734: 7F2C4596
	v_mov_b32_e32 v151, 0x358637bd                             // 000000009738: 7F2E02FF 358637BD
	v_max3_f32 v151, |v108|, |v109|, v151                      // 000000009740: D1D30397 065EDB6C
	v_max3_f32 v151, |v110|, |v111|, v151                      // 000000009748: D1D30397 065EDF6E
	v_max3_f32 v151, |v140|, |v141|, v151                      // 000000009750: D1D30397 065F1B8C
	v_max3_f32 v151, |v142|, |v143|, v151                      // 000000009758: D1D30397 065F1F8E
	ds_write_b32 v152, v151                                    // 000000009760: D81A0000 00009798
	s_waitcnt lgkmcnt(0)                                       // 000000009768: BF8CC07F
	s_barrier                                                  // 00000000976C: BF8A0000
	ds_read_b32 v4, v153                                       // 000000009770: D86C0000 04000099
	ds_read_b32 v5, v153 offset:64                             // 000000009778: D86C0040 05000099
	ds_read_b32 v6, v153 offset:128                            // 000000009780: D86C0080 06000099
	ds_read_b32 v7, v153 offset:192                            // 000000009788: D86C00C0 07000099
	ds_read_b32 v8, v153 offset:256                            // 000000009790: D86C0100 08000099
	ds_read_b32 v9, v153 offset:320                            // 000000009798: D86C0140 09000099
	ds_read_b32 v10, v153 offset:384                           // 0000000097A0: D86C0180 0A000099
	ds_read_b32 v11, v153 offset:448                           // 0000000097A8: D86C01C0 0B000099
	ds_read_b32 v12, v153 offset:512                           // 0000000097B0: D86C0200 0C000099
	ds_read_b32 v13, v153 offset:576                           // 0000000097B8: D86C0240 0D000099
	ds_read_b32 v14, v153 offset:640                           // 0000000097C0: D86C0280 0E000099
	ds_read_b32 v15, v153 offset:704                           // 0000000097C8: D86C02C0 0F000099
	ds_read_b32 v16, v153 offset:768                           // 0000000097D0: D86C0300 10000099
	ds_read_b32 v17, v153 offset:832                           // 0000000097D8: D86C0340 11000099
	ds_read_b32 v18, v153 offset:896                           // 0000000097E0: D86C0380 12000099
	ds_read_b32 v19, v153 offset:960                           // 0000000097E8: D86C03C0 13000099
	s_waitcnt lgkmcnt(0)                                       // 0000000097F0: BF8CC07F
	s_barrier                                                  // 0000000097F4: BF8A0000
	v_max3_f32 v151, |v4|, |v5|, v151                          // 0000000097F8: D1D30397 065E0B04
	v_max3_f32 v151, |v6|, |v7|, v151                          // 000000009800: D1D30397 065E0F06
	v_max3_f32 v151, |v8|, |v9|, v151                          // 000000009808: D1D30397 065E1308
	v_max3_f32 v151, |v10|, |v11|, v151                        // 000000009810: D1D30397 065E170A
	v_max3_f32 v151, |v12|, |v13|, v151                        // 000000009818: D1D30397 065E1B0C
	v_max3_f32 v151, |v14|, |v15|, v151                        // 000000009820: D1D30397 065E1F0E
	v_max3_f32 v151, |v16|, |v17|, v151                        // 000000009828: D1D30397 065E2310
	v_max3_f32 v151, |v18|, |v19|, v151                        // 000000009830: D1D30397 065E2712
	v_rcp_f32_e32 v151, v151                                   // 000000009838: 7F2E4597
	v_mov_b32_e32 v4, 0x43700000                               // 00000000983C: 7E0802FF 43700000
	v_mul_f32_e32 v151, v4, v151                               // 000000009844: 0B2F2F04
	v_mov_b32_e32 v4, v151                                     // 000000009848: 7E080397
	v_mov_b32_e32 v5, v4                                       // 00000000984C: 7E0A0304
	v_pk_mul_f32 v[108:109], v[4:5], v[108:109]                // 000000009850: D3B1406C 1802D904
	v_pk_mul_f32 v[110:111], v[4:5], v[110:111]                // 000000009858: D3B1406E 1802DD04
	v_cvt_pk_fp8_f32 v108, v108, v109                          // 000000009860: D2A2006C 0002DB6C
	v_cvt_pk_fp8_f32 v108, v110, v111 op_sel:[0,0,1]           // 000000009868: D2A2406C 0002DF6E
	v_pk_mul_f32 v[140:141], v[4:5], v[140:141]                // 000000009870: D3B1408C 18031904
	v_pk_mul_f32 v[142:143], v[4:5], v[142:143]                // 000000009878: D3B1408E 18031D04
	v_cvt_pk_fp8_f32 v140, v140, v141                          // 000000009880: D2A2008C 00031B8C
	v_cvt_pk_fp8_f32 v140, v142, v143 op_sel:[0,0,1]           // 000000009888: D2A2408C 00031F8E
	v_rcp_f32_e32 v151, v151                                   // 000000009890: 7F2E4597
	v_lshrrev_b32_e32 v4, 5, v0                                // 000000009894: 20080085
	v_mul_lo_u32 v20, 34, v4                                   // 000000009898: D2850014 000208A2
	v_and_b32_e32 v4, 31, v0                                   // 0000000098A0: 2608009F
	v_lshrrev_b32_e32 v5, 4, v4                                // 0000000098A4: 200A0884
	v_add_u32_e32 v20, v5, v20                                 // 0000000098A8: 68282905
	v_and_b32_e32 v4, 15, v0                                   // 0000000098AC: 2608008F
	v_mul_lo_u32 v5, 2, v4                                     // 0000000098B0: D2850005 00020882
	v_add_u32_e32 v20, v5, v20                                 // 0000000098B8: 68282905
	s_mul_i32 s60, s7, 0x44                                    // 0000000098BC: 923CFF07 00000044
	v_add_u32_e32 v20, s60, v20                                // 0000000098C4: 6828283C
	v_lshlrev_b32_e32 v20, 2, v20                              // 0000000098C8: 24282882
	ds_write_b32 v20, v80                                      // 0000000098CC: D81A0000 00005014
	ds_write_b32 v20, v84 offset:2176                          // 0000000098D4: D81A0880 00005414
	ds_write_b32 v20, v88 offset:4352                          // 0000000098DC: D81A1100 00005814
	ds_write_b32 v20, v92 offset:6528                          // 0000000098E4: D81A1980 00005C14
	ds_write_b32 v20, v96 offset:8704                          // 0000000098EC: D81A2200 00006014
	ds_write_b32 v20, v100 offset:10880                        // 0000000098F4: D81A2A80 00006414
	ds_write_b32 v20, v104 offset:13056                        // 0000000098FC: D81A3300 00006814
	ds_write_b32 v20, v108 offset:15232                        // 000000009904: D81A3B80 00006C14
	ds_write_b32 v20, v112 offset:1088                         // 00000000990C: D81A0440 00007014
	ds_write_b32 v20, v116 offset:3264                         // 000000009914: D81A0CC0 00007414
	ds_write_b32 v20, v120 offset:5440                         // 00000000991C: D81A1540 00007814
	ds_write_b32 v20, v124 offset:7616                         // 000000009924: D81A1DC0 00007C14
	ds_write_b32 v20, v128 offset:9792                         // 00000000992C: D81A2640 00008014
	ds_write_b32 v20, v132 offset:11968                        // 000000009934: D81A2EC0 00008414
	ds_write_b32 v20, v136 offset:14144                        // 00000000993C: D81A3740 00008814
	ds_write_b32 v20, v140 offset:16320                        // 000000009944: D81A3FC0 00008C14
	v_lshrrev_b32_e32 v4, 5, v0                                // 00000000994C: 20080085
	v_xor_b32_e32 v5, 1, v4                                    // 000000009950: 2A0A0881
	s_mul_i32 s60, s65, 1                                      // 000000009954: 923C8141
	s_cmp_eq_u32 s88, 0                                        // 000000009958: BF068058
	s_cselect_b32 s61, 1, 8                                    // 00000000995C: 853D8881
	s_mul_i32 s60, s61, s60                                    // 000000009960: 923C3C3D
	v_readlane_b32 s82, v3, 0                                  // 000000009964: D2890052 00010103
	s_lshr_b32 s61, s82, 24                                    // 00000000996C: 8F3D9852
	s_and_b32 s82, s82, 0xffffff                               // 000000009970: 8652FF52 00FFFFFF
	s_mul_i32 s82, s82, s71                                    // 000000009978: 92524752
	s_mul_i32 s61, s60, s61                                    // 00000000997C: 923D3D3C
	s_add_u32 s82, s82, s61                                    // 000000009980: 80523D52
	v_mul_lo_u32 v6, v5, s82                                   // 000000009984: D2850006 0000A505
	v_readlane_b32 s82, v3, 1                                  // 00000000998C: D2890052 00010303
	s_lshr_b32 s61, s82, 24                                    // 000000009994: 8F3D9852
	s_and_b32 s82, s82, 0xffffff                               // 000000009998: 8652FF52 00FFFFFF
	s_mul_i32 s82, s82, s71                                    // 0000000099A0: 92524752
	s_mul_i32 s61, s60, s61                                    // 0000000099A4: 923D3D3C
	s_add_u32 s82, s82, s61                                    // 0000000099A8: 80523D52
	v_mul_lo_u32 v7, v4, s82                                   // 0000000099AC: D2850007 0000A504
	v_add_u32_e32 v62, v6, v7                                  // 0000000099B4: 687C0F06
	v_readlane_b32 s82, v3, 2                                  // 0000000099B8: D2890052 00010503
	s_lshr_b32 s61, s82, 24                                    // 0000000099C0: 8F3D9852
	s_and_b32 s82, s82, 0xffffff                               // 0000000099C4: 8652FF52 00FFFFFF
	s_mul_i32 s82, s82, s71                                    // 0000000099CC: 92524752
	s_mul_i32 s61, s60, s61                                    // 0000000099D0: 923D3D3C
	s_add_u32 s82, s82, s61                                    // 0000000099D4: 80523D52
	v_mul_lo_u32 v6, v5, s82                                   // 0000000099D8: D2850006 0000A505
	v_readlane_b32 s82, v3, 3                                  // 0000000099E0: D2890052 00010703
	s_lshr_b32 s61, s82, 24                                    // 0000000099E8: 8F3D9852
	s_and_b32 s82, s82, 0xffffff                               // 0000000099EC: 8652FF52 00FFFFFF
	s_mul_i32 s82, s82, s71                                    // 0000000099F4: 92524752
	s_mul_i32 s61, s60, s61                                    // 0000000099F8: 923D3D3C
	s_add_u32 s82, s82, s61                                    // 0000000099FC: 80523D52
	v_mul_lo_u32 v7, v4, s82                                   // 000000009A00: D2850007 0000A504
	v_add_u32_e32 v63, v6, v7                                  // 000000009A08: 687E0F06
	v_readlane_b32 s82, v3, 4                                  // 000000009A0C: D2890052 00010903
	s_lshr_b32 s61, s82, 24                                    // 000000009A14: 8F3D9852
	s_and_b32 s82, s82, 0xffffff                               // 000000009A18: 8652FF52 00FFFFFF
	s_mul_i32 s82, s82, s71                                    // 000000009A20: 92524752
	s_mul_i32 s61, s60, s61                                    // 000000009A24: 923D3D3C
	s_add_u32 s82, s82, s61                                    // 000000009A28: 80523D52
	v_mul_lo_u32 v6, v5, s82                                   // 000000009A2C: D2850006 0000A505
	v_readlane_b32 s82, v3, 5                                  // 000000009A34: D2890052 00010B03
	s_lshr_b32 s61, s82, 24                                    // 000000009A3C: 8F3D9852
	s_and_b32 s82, s82, 0xffffff                               // 000000009A40: 8652FF52 00FFFFFF
	s_mul_i32 s82, s82, s71                                    // 000000009A48: 92524752
	s_mul_i32 s61, s60, s61                                    // 000000009A4C: 923D3D3C
	s_add_u32 s82, s82, s61                                    // 000000009A50: 80523D52
	v_mul_lo_u32 v7, v4, s82                                   // 000000009A54: D2850007 0000A504
	v_add_u32_e32 v64, v6, v7                                  // 000000009A5C: 68800F06
	v_readlane_b32 s82, v3, 6                                  // 000000009A60: D2890052 00010D03
	s_lshr_b32 s61, s82, 24                                    // 000000009A68: 8F3D9852
	s_and_b32 s82, s82, 0xffffff                               // 000000009A6C: 8652FF52 00FFFFFF
	s_mul_i32 s82, s82, s71                                    // 000000009A74: 92524752
	s_mul_i32 s61, s60, s61                                    // 000000009A78: 923D3D3C
	s_add_u32 s82, s82, s61                                    // 000000009A7C: 80523D52
	v_mul_lo_u32 v6, v5, s82                                   // 000000009A80: D2850006 0000A505
	v_readlane_b32 s82, v3, 7                                  // 000000009A88: D2890052 00010F03
	s_lshr_b32 s61, s82, 24                                    // 000000009A90: 8F3D9852
	s_and_b32 s82, s82, 0xffffff                               // 000000009A94: 8652FF52 00FFFFFF
	s_mul_i32 s82, s82, s71                                    // 000000009A9C: 92524752
	s_mul_i32 s61, s60, s61                                    // 000000009AA0: 923D3D3C
	s_add_u32 s82, s82, s61                                    // 000000009AA4: 80523D52
	v_mul_lo_u32 v7, v4, s82                                   // 000000009AA8: D2850007 0000A504
	v_add_u32_e32 v65, v6, v7                                  // 000000009AB0: 68820F06
	v_readlane_b32 s82, v3, 8                                  // 000000009AB4: D2890052 00011103
	s_lshr_b32 s61, s82, 24                                    // 000000009ABC: 8F3D9852
	s_and_b32 s82, s82, 0xffffff                               // 000000009AC0: 8652FF52 00FFFFFF
	s_mul_i32 s82, s82, s71                                    // 000000009AC8: 92524752
	s_mul_i32 s61, s60, s61                                    // 000000009ACC: 923D3D3C
	s_add_u32 s82, s82, s61                                    // 000000009AD0: 80523D52
	v_mul_lo_u32 v6, v5, s82                                   // 000000009AD4: D2850006 0000A505
	v_readlane_b32 s82, v3, 9                                  // 000000009ADC: D2890052 00011303
	s_lshr_b32 s61, s82, 24                                    // 000000009AE4: 8F3D9852
	s_and_b32 s82, s82, 0xffffff                               // 000000009AE8: 8652FF52 00FFFFFF
	s_mul_i32 s82, s82, s71                                    // 000000009AF0: 92524752
	s_mul_i32 s61, s60, s61                                    // 000000009AF4: 923D3D3C
	s_add_u32 s82, s82, s61                                    // 000000009AF8: 80523D52
	v_mul_lo_u32 v7, v4, s82                                   // 000000009AFC: D2850007 0000A504
	v_add_u32_e32 v66, v6, v7                                  // 000000009B04: 68840F06
	v_readlane_b32 s82, v3, 10                                 // 000000009B08: D2890052 00011503
	s_lshr_b32 s61, s82, 24                                    // 000000009B10: 8F3D9852
	s_and_b32 s82, s82, 0xffffff                               // 000000009B14: 8652FF52 00FFFFFF
	s_mul_i32 s82, s82, s71                                    // 000000009B1C: 92524752
	s_mul_i32 s61, s60, s61                                    // 000000009B20: 923D3D3C
	s_add_u32 s82, s82, s61                                    // 000000009B24: 80523D52
	v_mul_lo_u32 v6, v5, s82                                   // 000000009B28: D2850006 0000A505
	v_readlane_b32 s82, v3, 11                                 // 000000009B30: D2890052 00011703
	s_lshr_b32 s61, s82, 24                                    // 000000009B38: 8F3D9852
	s_and_b32 s82, s82, 0xffffff                               // 000000009B3C: 8652FF52 00FFFFFF
	s_mul_i32 s82, s82, s71                                    // 000000009B44: 92524752
	s_mul_i32 s61, s60, s61                                    // 000000009B48: 923D3D3C
	s_add_u32 s82, s82, s61                                    // 000000009B4C: 80523D52
	v_mul_lo_u32 v7, v4, s82                                   // 000000009B50: D2850007 0000A504
	v_add_u32_e32 v67, v6, v7                                  // 000000009B58: 68860F06
	v_readlane_b32 s82, v3, 12                                 // 000000009B5C: D2890052 00011903
	s_lshr_b32 s61, s82, 24                                    // 000000009B64: 8F3D9852
	s_and_b32 s82, s82, 0xffffff                               // 000000009B68: 8652FF52 00FFFFFF
	s_mul_i32 s82, s82, s71                                    // 000000009B70: 92524752
	s_mul_i32 s61, s60, s61                                    // 000000009B74: 923D3D3C
	s_add_u32 s82, s82, s61                                    // 000000009B78: 80523D52
	v_mul_lo_u32 v6, v5, s82                                   // 000000009B7C: D2850006 0000A505
	v_readlane_b32 s82, v3, 13                                 // 000000009B84: D2890052 00011B03
	s_lshr_b32 s61, s82, 24                                    // 000000009B8C: 8F3D9852
	s_and_b32 s82, s82, 0xffffff                               // 000000009B90: 8652FF52 00FFFFFF
	s_mul_i32 s82, s82, s71                                    // 000000009B98: 92524752
	s_mul_i32 s61, s60, s61                                    // 000000009B9C: 923D3D3C
	s_add_u32 s82, s82, s61                                    // 000000009BA0: 80523D52
	v_mul_lo_u32 v7, v4, s82                                   // 000000009BA4: D2850007 0000A504
	v_add_u32_e32 v68, v6, v7                                  // 000000009BAC: 68880F06
	v_readlane_b32 s82, v3, 14                                 // 000000009BB0: D2890052 00011D03
	s_lshr_b32 s61, s82, 24                                    // 000000009BB8: 8F3D9852
	s_and_b32 s82, s82, 0xffffff                               // 000000009BBC: 8652FF52 00FFFFFF
	s_mul_i32 s82, s82, s71                                    // 000000009BC4: 92524752
	s_mul_i32 s61, s60, s61                                    // 000000009BC8: 923D3D3C
	s_add_u32 s82, s82, s61                                    // 000000009BCC: 80523D52
	v_mul_lo_u32 v6, v5, s82                                   // 000000009BD0: D2850006 0000A505
	v_readlane_b32 s82, v3, 15                                 // 000000009BD8: D2890052 00011F03
	s_lshr_b32 s61, s82, 24                                    // 000000009BE0: 8F3D9852
	s_and_b32 s82, s82, 0xffffff                               // 000000009BE4: 8652FF52 00FFFFFF
	s_mul_i32 s82, s82, s71                                    // 000000009BEC: 92524752
	s_mul_i32 s61, s60, s61                                    // 000000009BF0: 923D3D3C
	s_add_u32 s82, s82, s61                                    // 000000009BF4: 80523D52
	v_mul_lo_u32 v7, v4, s82                                   // 000000009BF8: D2850007 0000A504
	v_add_u32_e32 v69, v6, v7                                  // 000000009C00: 688A0F06
	v_readlane_b32 s82, v3, 16                                 // 000000009C04: D2890052 00012103
	s_lshr_b32 s61, s82, 24                                    // 000000009C0C: 8F3D9852
	s_and_b32 s82, s82, 0xffffff                               // 000000009C10: 8652FF52 00FFFFFF
	s_mul_i32 s82, s82, s71                                    // 000000009C18: 92524752
	s_mul_i32 s61, s60, s61                                    // 000000009C1C: 923D3D3C
	s_add_u32 s82, s82, s61                                    // 000000009C20: 80523D52
	v_mul_lo_u32 v6, v5, s82                                   // 000000009C24: D2850006 0000A505
	v_readlane_b32 s82, v3, 17                                 // 000000009C2C: D2890052 00012303
	s_lshr_b32 s61, s82, 24                                    // 000000009C34: 8F3D9852
	s_and_b32 s82, s82, 0xffffff                               // 000000009C38: 8652FF52 00FFFFFF
	s_mul_i32 s82, s82, s71                                    // 000000009C40: 92524752
	s_mul_i32 s61, s60, s61                                    // 000000009C44: 923D3D3C
	s_add_u32 s82, s82, s61                                    // 000000009C48: 80523D52
	v_mul_lo_u32 v7, v4, s82                                   // 000000009C4C: D2850007 0000A504
	v_add_u32_e32 v70, v6, v7                                  // 000000009C54: 688C0F06
	v_readlane_b32 s82, v3, 18                                 // 000000009C58: D2890052 00012503
	s_lshr_b32 s61, s82, 24                                    // 000000009C60: 8F3D9852
	s_and_b32 s82, s82, 0xffffff                               // 000000009C64: 8652FF52 00FFFFFF
	s_mul_i32 s82, s82, s71                                    // 000000009C6C: 92524752
	s_mul_i32 s61, s60, s61                                    // 000000009C70: 923D3D3C
	s_add_u32 s82, s82, s61                                    // 000000009C74: 80523D52
	v_mul_lo_u32 v6, v5, s82                                   // 000000009C78: D2850006 0000A505
	v_readlane_b32 s82, v3, 19                                 // 000000009C80: D2890052 00012703
	s_lshr_b32 s61, s82, 24                                    // 000000009C88: 8F3D9852
	s_and_b32 s82, s82, 0xffffff                               // 000000009C8C: 8652FF52 00FFFFFF
	s_mul_i32 s82, s82, s71                                    // 000000009C94: 92524752
	s_mul_i32 s61, s60, s61                                    // 000000009C98: 923D3D3C
	s_add_u32 s82, s82, s61                                    // 000000009C9C: 80523D52
	v_mul_lo_u32 v7, v4, s82                                   // 000000009CA0: D2850007 0000A504
	v_add_u32_e32 v71, v6, v7                                  // 000000009CA8: 688E0F06
	v_readlane_b32 s82, v3, 20                                 // 000000009CAC: D2890052 00012903
	s_lshr_b32 s61, s82, 24                                    // 000000009CB4: 8F3D9852
	s_and_b32 s82, s82, 0xffffff                               // 000000009CB8: 8652FF52 00FFFFFF
	s_mul_i32 s82, s82, s71                                    // 000000009CC0: 92524752
	s_mul_i32 s61, s60, s61                                    // 000000009CC4: 923D3D3C
	s_add_u32 s82, s82, s61                                    // 000000009CC8: 80523D52
	v_mul_lo_u32 v6, v5, s82                                   // 000000009CCC: D2850006 0000A505
	v_readlane_b32 s82, v3, 21                                 // 000000009CD4: D2890052 00012B03
	s_lshr_b32 s61, s82, 24                                    // 000000009CDC: 8F3D9852
	s_and_b32 s82, s82, 0xffffff                               // 000000009CE0: 8652FF52 00FFFFFF
	s_mul_i32 s82, s82, s71                                    // 000000009CE8: 92524752
	s_mul_i32 s61, s60, s61                                    // 000000009CEC: 923D3D3C
	s_add_u32 s82, s82, s61                                    // 000000009CF0: 80523D52
	v_mul_lo_u32 v7, v4, s82                                   // 000000009CF4: D2850007 0000A504
	v_add_u32_e32 v72, v6, v7                                  // 000000009CFC: 68900F06
	v_readlane_b32 s82, v3, 22                                 // 000000009D00: D2890052 00012D03
	s_lshr_b32 s61, s82, 24                                    // 000000009D08: 8F3D9852
	s_and_b32 s82, s82, 0xffffff                               // 000000009D0C: 8652FF52 00FFFFFF
	s_mul_i32 s82, s82, s71                                    // 000000009D14: 92524752
	s_mul_i32 s61, s60, s61                                    // 000000009D18: 923D3D3C
	s_add_u32 s82, s82, s61                                    // 000000009D1C: 80523D52
	v_mul_lo_u32 v6, v5, s82                                   // 000000009D20: D2850006 0000A505
	v_readlane_b32 s82, v3, 23                                 // 000000009D28: D2890052 00012F03
	s_lshr_b32 s61, s82, 24                                    // 000000009D30: 8F3D9852
	s_and_b32 s82, s82, 0xffffff                               // 000000009D34: 8652FF52 00FFFFFF
	s_mul_i32 s82, s82, s71                                    // 000000009D3C: 92524752
	s_mul_i32 s61, s60, s61                                    // 000000009D40: 923D3D3C
	s_add_u32 s82, s82, s61                                    // 000000009D44: 80523D52
	v_mul_lo_u32 v7, v4, s82                                   // 000000009D48: D2850007 0000A504
	v_add_u32_e32 v73, v6, v7                                  // 000000009D50: 68920F06
	v_readlane_b32 s82, v3, 24                                 // 000000009D54: D2890052 00013103
	s_lshr_b32 s61, s82, 24                                    // 000000009D5C: 8F3D9852
	s_and_b32 s82, s82, 0xffffff                               // 000000009D60: 8652FF52 00FFFFFF
	s_mul_i32 s82, s82, s71                                    // 000000009D68: 92524752
	s_mul_i32 s61, s60, s61                                    // 000000009D6C: 923D3D3C
	s_add_u32 s82, s82, s61                                    // 000000009D70: 80523D52
	v_mul_lo_u32 v6, v5, s82                                   // 000000009D74: D2850006 0000A505
	v_readlane_b32 s82, v3, 25                                 // 000000009D7C: D2890052 00013303
	s_lshr_b32 s61, s82, 24                                    // 000000009D84: 8F3D9852
	s_and_b32 s82, s82, 0xffffff                               // 000000009D88: 8652FF52 00FFFFFF
	s_mul_i32 s82, s82, s71                                    // 000000009D90: 92524752
	s_mul_i32 s61, s60, s61                                    // 000000009D94: 923D3D3C
	s_add_u32 s82, s82, s61                                    // 000000009D98: 80523D52
	v_mul_lo_u32 v7, v4, s82                                   // 000000009D9C: D2850007 0000A504
	v_add_u32_e32 v74, v6, v7                                  // 000000009DA4: 68940F06
	v_readlane_b32 s82, v3, 26                                 // 000000009DA8: D2890052 00013503
	s_lshr_b32 s61, s82, 24                                    // 000000009DB0: 8F3D9852
	s_and_b32 s82, s82, 0xffffff                               // 000000009DB4: 8652FF52 00FFFFFF
	s_mul_i32 s82, s82, s71                                    // 000000009DBC: 92524752
	s_mul_i32 s61, s60, s61                                    // 000000009DC0: 923D3D3C
	s_add_u32 s82, s82, s61                                    // 000000009DC4: 80523D52
	v_mul_lo_u32 v6, v5, s82                                   // 000000009DC8: D2850006 0000A505
	v_readlane_b32 s82, v3, 27                                 // 000000009DD0: D2890052 00013703
	s_lshr_b32 s61, s82, 24                                    // 000000009DD8: 8F3D9852
	s_and_b32 s82, s82, 0xffffff                               // 000000009DDC: 8652FF52 00FFFFFF
	s_mul_i32 s82, s82, s71                                    // 000000009DE4: 92524752
	s_mul_i32 s61, s60, s61                                    // 000000009DE8: 923D3D3C
	s_add_u32 s82, s82, s61                                    // 000000009DEC: 80523D52
	v_mul_lo_u32 v7, v4, s82                                   // 000000009DF0: D2850007 0000A504
	v_add_u32_e32 v75, v6, v7                                  // 000000009DF8: 68960F06
	v_readlane_b32 s82, v3, 28                                 // 000000009DFC: D2890052 00013903
	s_lshr_b32 s61, s82, 24                                    // 000000009E04: 8F3D9852
	s_and_b32 s82, s82, 0xffffff                               // 000000009E08: 8652FF52 00FFFFFF
	s_mul_i32 s82, s82, s71                                    // 000000009E10: 92524752
	s_mul_i32 s61, s60, s61                                    // 000000009E14: 923D3D3C
	s_add_u32 s82, s82, s61                                    // 000000009E18: 80523D52
	v_mul_lo_u32 v6, v5, s82                                   // 000000009E1C: D2850006 0000A505
	v_readlane_b32 s82, v3, 29                                 // 000000009E24: D2890052 00013B03
	s_lshr_b32 s61, s82, 24                                    // 000000009E2C: 8F3D9852
	s_and_b32 s82, s82, 0xffffff                               // 000000009E30: 8652FF52 00FFFFFF
	s_mul_i32 s82, s82, s71                                    // 000000009E38: 92524752
	s_mul_i32 s61, s60, s61                                    // 000000009E3C: 923D3D3C
	s_add_u32 s82, s82, s61                                    // 000000009E40: 80523D52
	v_mul_lo_u32 v7, v4, s82                                   // 000000009E44: D2850007 0000A504
	v_add_u32_e32 v76, v6, v7                                  // 000000009E4C: 68980F06
	v_readlane_b32 s82, v3, 30                                 // 000000009E50: D2890052 00013D03
	s_lshr_b32 s61, s82, 24                                    // 000000009E58: 8F3D9852
	s_and_b32 s82, s82, 0xffffff                               // 000000009E5C: 8652FF52 00FFFFFF
	s_mul_i32 s82, s82, s71                                    // 000000009E64: 92524752
	s_mul_i32 s61, s60, s61                                    // 000000009E68: 923D3D3C
	s_add_u32 s82, s82, s61                                    // 000000009E6C: 80523D52
	v_mul_lo_u32 v6, v5, s82                                   // 000000009E70: D2850006 0000A505
	v_readlane_b32 s82, v3, 31                                 // 000000009E78: D2890052 00013F03
	s_lshr_b32 s61, s82, 24                                    // 000000009E80: 8F3D9852
	s_and_b32 s82, s82, 0xffffff                               // 000000009E84: 8652FF52 00FFFFFF
	s_mul_i32 s82, s82, s71                                    // 000000009E8C: 92524752
	s_mul_i32 s61, s60, s61                                    // 000000009E90: 923D3D3C
	s_add_u32 s82, s82, s61                                    // 000000009E94: 80523D52
	v_mul_lo_u32 v7, v4, s82                                   // 000000009E98: D2850007 0000A504
	v_add_u32_e32 v77, v6, v7                                  // 000000009EA0: 689A0F06
	v_and_b32_e32 v4, 31, v0                                   // 000000009EA4: 2608009F
	v_lshrrev_b32_e32 v4, 1, v4                                // 000000009EA8: 20080881
	s_cmp_eq_u32 s88, 0                                        // 000000009EAC: BF068058
	s_cselect_b32 s61, 2, 4                                    // 000000009EB0: 853D8482
	v_mul_lo_u32 v4, v4, s61                                   // 000000009EB4: D2850004 00007B04
	v_and_b32_e64 v5, v0, 1                                    // 000000009EBC: D1130005 00010300
	v_add_u32_e32 v4, v4, v5                                   // 000000009EC4: 68080B04
	v_lshlrev_b32_e32 v4, 2, v4                                // 000000009EC8: 24080882
	v_add_u32_e32 v62, v62, v4                                 // 000000009ECC: 687C093E
	v_add_u32_e32 v63, v63, v4                                 // 000000009ED0: 687E093F
	v_add_u32_e32 v64, v64, v4                                 // 000000009ED4: 68800940
	v_add_u32_e32 v65, v65, v4                                 // 000000009ED8: 68820941
	v_add_u32_e32 v66, v66, v4                                 // 000000009EDC: 68840942
	v_add_u32_e32 v67, v67, v4                                 // 000000009EE0: 68860943
	v_add_u32_e32 v68, v68, v4                                 // 000000009EE4: 68880944
	v_add_u32_e32 v69, v69, v4                                 // 000000009EE8: 688A0945
	v_add_u32_e32 v70, v70, v4                                 // 000000009EEC: 688C0946
	v_add_u32_e32 v71, v71, v4                                 // 000000009EF0: 688E0947
	v_add_u32_e32 v72, v72, v4                                 // 000000009EF4: 68900948
	v_add_u32_e32 v73, v73, v4                                 // 000000009EF8: 68920949
	v_add_u32_e32 v74, v74, v4                                 // 000000009EFC: 6894094A
	v_add_u32_e32 v75, v75, v4                                 // 000000009F00: 6896094B
	v_add_u32_e32 v76, v76, v4                                 // 000000009F04: 6898094C
	v_add_u32_e32 v77, v77, v4                                 // 000000009F08: 689A094D
	s_waitcnt lgkmcnt(0)                                       // 000000009F0C: BF8CC07F
	s_barrier                                                  // 000000009F10: BF8A0000
	ds_read_b32 v80, v21                                       // 000000009F14: D86C0000 50000015
	ds_read_b32 v81, v21 offset:64                             // 000000009F1C: D86C0040 51000015
	ds_read_b32 v82, v21 offset:2176                           // 000000009F24: D86C0880 52000015
	ds_read_b32 v83, v21 offset:2240                           // 000000009F2C: D86C08C0 53000015
	ds_read_b32 v84, v21 offset:4352                           // 000000009F34: D86C1100 54000015
	ds_read_b32 v85, v21 offset:4416                           // 000000009F3C: D86C1140 55000015
	ds_read_b32 v86, v21 offset:6528                           // 000000009F44: D86C1980 56000015
	ds_read_b32 v87, v21 offset:6592                           // 000000009F4C: D86C19C0 57000015
	ds_read_b32 v88, v21 offset:8704                           // 000000009F54: D86C2200 58000015
	ds_read_b32 v89, v21 offset:8768                           // 000000009F5C: D86C2240 59000015
	ds_read_b32 v90, v21 offset:10880                          // 000000009F64: D86C2A80 5A000015
	ds_read_b32 v91, v21 offset:10944                          // 000000009F6C: D86C2AC0 5B000015
	ds_read_b32 v92, v21 offset:13056                          // 000000009F74: D86C3300 5C000015
	ds_read_b32 v93, v21 offset:13120                          // 000000009F7C: D86C3340 5D000015
	ds_read_b32 v94, v21 offset:15232                          // 000000009F84: D86C3B80 5E000015
	ds_read_b32 v95, v21 offset:15296                          // 000000009F8C: D86C3BC0 5F000015
	s_waitcnt lgkmcnt(0)                                       // 000000009F94: BF8CC07F
	s_mov_b32 s36, -1                                          // 000000009F98: BEA400C1
	s_mov_b32 s37, -1                                          // 000000009F9C: BEA500C1
	v_mov_b32_e32 v7, 0                                        // 000000009FA0: 7E0E0280
	s_or_b32 s9, s9, 0x40000                                   // 000000009FA4: 8709FF09 00040000
	s_mov_b64 exec, s[36:37]                                   // 000000009FAC: BEFE0124
	v_mov_b32_e32 v6, v62                                      // 000000009FB0: 7E0C033E
	s_mov_b64 s[60:61], 0                                      // 000000009FB4: BEBC0180
	v_readlane_b32 s82, v3, 0                                  // 000000009FB8: D2890052 00010103
	s_and_b32 s82, s82, 0xffffff                               // 000000009FC0: 8652FF52 00FFFFFF
	s_cmp_lt_u32 s82, s66                                      // 000000009FC8: BF0A4252
	s_cselect_b32 s20, s36, s60                                // 000000009FCC: 85143C24
	v_readlane_b32 s82, v3, 1                                  // 000000009FD0: D2890052 00010303
	s_and_b32 s82, s82, 0xffffff                               // 000000009FD8: 8652FF52 00FFFFFF
	s_cmp_lt_u32 s82, s66                                      // 000000009FE0: BF0A4252
	s_cselect_b32 s21, s36, s60                                // 000000009FE4: 85153C24
	s_mov_b64 exec, s[20:21]                                   // 000000009FE8: BEFE0114
	buffer_store_dword v80, v6, s[8:11], 0 offen               // 000000009FEC: E0701000 80025006
	s_mov_b64 exec, s[36:37]                                   // 000000009FF4: BEFE0124
	v_mov_b32_e32 v6, v63                                      // 000000009FF8: 7E0C033F
	s_mov_b64 s[60:61], 0                                      // 000000009FFC: BEBC0180
	v_readlane_b32 s82, v3, 2                                  // 00000000A000: D2890052 00010503
	s_and_b32 s82, s82, 0xffffff                               // 00000000A008: 8652FF52 00FFFFFF
	s_cmp_lt_u32 s82, s66                                      // 00000000A010: BF0A4252
	s_cselect_b32 s20, s36, s60                                // 00000000A014: 85143C24
	v_readlane_b32 s82, v3, 3                                  // 00000000A018: D2890052 00010703
	s_and_b32 s82, s82, 0xffffff                               // 00000000A020: 8652FF52 00FFFFFF
	s_cmp_lt_u32 s82, s66                                      // 00000000A028: BF0A4252
	s_cselect_b32 s21, s36, s60                                // 00000000A02C: 85153C24
	s_mov_b64 exec, s[20:21]                                   // 00000000A030: BEFE0114
	buffer_store_dword v81, v6, s[8:11], 0 offen               // 00000000A034: E0701000 80025106
	s_mov_b64 exec, s[36:37]                                   // 00000000A03C: BEFE0124
	v_mov_b32_e32 v6, v64                                      // 00000000A040: 7E0C0340
	s_mov_b64 s[60:61], 0                                      // 00000000A044: BEBC0180
	v_readlane_b32 s82, v3, 4                                  // 00000000A048: D2890052 00010903
	s_and_b32 s82, s82, 0xffffff                               // 00000000A050: 8652FF52 00FFFFFF
	s_cmp_lt_u32 s82, s66                                      // 00000000A058: BF0A4252
	s_cselect_b32 s20, s36, s60                                // 00000000A05C: 85143C24
	v_readlane_b32 s82, v3, 5                                  // 00000000A060: D2890052 00010B03
	s_and_b32 s82, s82, 0xffffff                               // 00000000A068: 8652FF52 00FFFFFF
	s_cmp_lt_u32 s82, s66                                      // 00000000A070: BF0A4252
	s_cselect_b32 s21, s36, s60                                // 00000000A074: 85153C24
	s_mov_b64 exec, s[20:21]                                   // 00000000A078: BEFE0114
	buffer_store_dword v82, v6, s[8:11], 0 offen               // 00000000A07C: E0701000 80025206
	s_mov_b64 exec, s[36:37]                                   // 00000000A084: BEFE0124
	v_mov_b32_e32 v6, v65                                      // 00000000A088: 7E0C0341
	s_mov_b64 s[60:61], 0                                      // 00000000A08C: BEBC0180
	v_readlane_b32 s82, v3, 6                                  // 00000000A090: D2890052 00010D03
	s_and_b32 s82, s82, 0xffffff                               // 00000000A098: 8652FF52 00FFFFFF
	s_cmp_lt_u32 s82, s66                                      // 00000000A0A0: BF0A4252
	s_cselect_b32 s20, s36, s60                                // 00000000A0A4: 85143C24
	v_readlane_b32 s82, v3, 7                                  // 00000000A0A8: D2890052 00010F03
	s_and_b32 s82, s82, 0xffffff                               // 00000000A0B0: 8652FF52 00FFFFFF
	s_cmp_lt_u32 s82, s66                                      // 00000000A0B8: BF0A4252
	s_cselect_b32 s21, s36, s60                                // 00000000A0BC: 85153C24
	s_mov_b64 exec, s[20:21]                                   // 00000000A0C0: BEFE0114
	buffer_store_dword v83, v6, s[8:11], 0 offen               // 00000000A0C4: E0701000 80025306
	s_mov_b64 exec, s[36:37]                                   // 00000000A0CC: BEFE0124
	v_mov_b32_e32 v6, v66                                      // 00000000A0D0: 7E0C0342
	s_mov_b64 s[60:61], 0                                      // 00000000A0D4: BEBC0180
	v_readlane_b32 s82, v3, 8                                  // 00000000A0D8: D2890052 00011103
	s_and_b32 s82, s82, 0xffffff                               // 00000000A0E0: 8652FF52 00FFFFFF
	s_cmp_lt_u32 s82, s66                                      // 00000000A0E8: BF0A4252
	s_cselect_b32 s20, s36, s60                                // 00000000A0EC: 85143C24
	v_readlane_b32 s82, v3, 9                                  // 00000000A0F0: D2890052 00011303
	s_and_b32 s82, s82, 0xffffff                               // 00000000A0F8: 8652FF52 00FFFFFF
	s_cmp_lt_u32 s82, s66                                      // 00000000A100: BF0A4252
	s_cselect_b32 s21, s36, s60                                // 00000000A104: 85153C24
	s_mov_b64 exec, s[20:21]                                   // 00000000A108: BEFE0114
	buffer_store_dword v84, v6, s[8:11], 0 offen               // 00000000A10C: E0701000 80025406
	s_mov_b64 exec, s[36:37]                                   // 00000000A114: BEFE0124
	v_mov_b32_e32 v6, v67                                      // 00000000A118: 7E0C0343
	s_mov_b64 s[60:61], 0                                      // 00000000A11C: BEBC0180
	v_readlane_b32 s82, v3, 10                                 // 00000000A120: D2890052 00011503
	s_and_b32 s82, s82, 0xffffff                               // 00000000A128: 8652FF52 00FFFFFF
	s_cmp_lt_u32 s82, s66                                      // 00000000A130: BF0A4252
	s_cselect_b32 s20, s36, s60                                // 00000000A134: 85143C24
	v_readlane_b32 s82, v3, 11                                 // 00000000A138: D2890052 00011703
	s_and_b32 s82, s82, 0xffffff                               // 00000000A140: 8652FF52 00FFFFFF
	s_cmp_lt_u32 s82, s66                                      // 00000000A148: BF0A4252
	s_cselect_b32 s21, s36, s60                                // 00000000A14C: 85153C24
	s_mov_b64 exec, s[20:21]                                   // 00000000A150: BEFE0114
	buffer_store_dword v85, v6, s[8:11], 0 offen               // 00000000A154: E0701000 80025506
	s_mov_b64 exec, s[36:37]                                   // 00000000A15C: BEFE0124
	v_mov_b32_e32 v6, v68                                      // 00000000A160: 7E0C0344
	s_mov_b64 s[60:61], 0                                      // 00000000A164: BEBC0180
	v_readlane_b32 s82, v3, 12                                 // 00000000A168: D2890052 00011903
	s_and_b32 s82, s82, 0xffffff                               // 00000000A170: 8652FF52 00FFFFFF
	s_cmp_lt_u32 s82, s66                                      // 00000000A178: BF0A4252
	s_cselect_b32 s20, s36, s60                                // 00000000A17C: 85143C24
	v_readlane_b32 s82, v3, 13                                 // 00000000A180: D2890052 00011B03
	s_and_b32 s82, s82, 0xffffff                               // 00000000A188: 8652FF52 00FFFFFF
	s_cmp_lt_u32 s82, s66                                      // 00000000A190: BF0A4252
	s_cselect_b32 s21, s36, s60                                // 00000000A194: 85153C24
	s_mov_b64 exec, s[20:21]                                   // 00000000A198: BEFE0114
	buffer_store_dword v86, v6, s[8:11], 0 offen               // 00000000A19C: E0701000 80025606
	s_mov_b64 exec, s[36:37]                                   // 00000000A1A4: BEFE0124
	v_mov_b32_e32 v6, v69                                      // 00000000A1A8: 7E0C0345
	s_mov_b64 s[60:61], 0                                      // 00000000A1AC: BEBC0180
	v_readlane_b32 s82, v3, 14                                 // 00000000A1B0: D2890052 00011D03
	s_and_b32 s82, s82, 0xffffff                               // 00000000A1B8: 8652FF52 00FFFFFF
	s_cmp_lt_u32 s82, s66                                      // 00000000A1C0: BF0A4252
	s_cselect_b32 s20, s36, s60                                // 00000000A1C4: 85143C24
	v_readlane_b32 s82, v3, 15                                 // 00000000A1C8: D2890052 00011F03
	s_and_b32 s82, s82, 0xffffff                               // 00000000A1D0: 8652FF52 00FFFFFF
	s_cmp_lt_u32 s82, s66                                      // 00000000A1D8: BF0A4252
	s_cselect_b32 s21, s36, s60                                // 00000000A1DC: 85153C24
	s_mov_b64 exec, s[20:21]                                   // 00000000A1E0: BEFE0114
	buffer_store_dword v87, v6, s[8:11], 0 offen               // 00000000A1E4: E0701000 80025706
	s_mov_b64 exec, s[36:37]                                   // 00000000A1EC: BEFE0124
	v_mov_b32_e32 v6, v70                                      // 00000000A1F0: 7E0C0346
	s_mov_b64 s[60:61], 0                                      // 00000000A1F4: BEBC0180
	v_readlane_b32 s82, v3, 16                                 // 00000000A1F8: D2890052 00012103
	s_and_b32 s82, s82, 0xffffff                               // 00000000A200: 8652FF52 00FFFFFF
	s_cmp_lt_u32 s82, s66                                      // 00000000A208: BF0A4252
	s_cselect_b32 s20, s36, s60                                // 00000000A20C: 85143C24
	v_readlane_b32 s82, v3, 17                                 // 00000000A210: D2890052 00012303
	s_and_b32 s82, s82, 0xffffff                               // 00000000A218: 8652FF52 00FFFFFF
	s_cmp_lt_u32 s82, s66                                      // 00000000A220: BF0A4252
	s_cselect_b32 s21, s36, s60                                // 00000000A224: 85153C24
	s_mov_b64 exec, s[20:21]                                   // 00000000A228: BEFE0114
	buffer_store_dword v88, v6, s[8:11], 0 offen               // 00000000A22C: E0701000 80025806
	s_mov_b64 exec, s[36:37]                                   // 00000000A234: BEFE0124
	v_mov_b32_e32 v6, v71                                      // 00000000A238: 7E0C0347
	s_mov_b64 s[60:61], 0                                      // 00000000A23C: BEBC0180
	v_readlane_b32 s82, v3, 18                                 // 00000000A240: D2890052 00012503
	s_and_b32 s82, s82, 0xffffff                               // 00000000A248: 8652FF52 00FFFFFF
	s_cmp_lt_u32 s82, s66                                      // 00000000A250: BF0A4252
	s_cselect_b32 s20, s36, s60                                // 00000000A254: 85143C24
	v_readlane_b32 s82, v3, 19                                 // 00000000A258: D2890052 00012703
	s_and_b32 s82, s82, 0xffffff                               // 00000000A260: 8652FF52 00FFFFFF
	s_cmp_lt_u32 s82, s66                                      // 00000000A268: BF0A4252
	s_cselect_b32 s21, s36, s60                                // 00000000A26C: 85153C24
	s_mov_b64 exec, s[20:21]                                   // 00000000A270: BEFE0114
	buffer_store_dword v89, v6, s[8:11], 0 offen               // 00000000A274: E0701000 80025906
	s_mov_b64 exec, s[36:37]                                   // 00000000A27C: BEFE0124
	v_mov_b32_e32 v6, v72                                      // 00000000A280: 7E0C0348
	s_mov_b64 s[60:61], 0                                      // 00000000A284: BEBC0180
	v_readlane_b32 s82, v3, 20                                 // 00000000A288: D2890052 00012903
	s_and_b32 s82, s82, 0xffffff                               // 00000000A290: 8652FF52 00FFFFFF
	s_cmp_lt_u32 s82, s66                                      // 00000000A298: BF0A4252
	s_cselect_b32 s20, s36, s60                                // 00000000A29C: 85143C24
	v_readlane_b32 s82, v3, 21                                 // 00000000A2A0: D2890052 00012B03
	s_and_b32 s82, s82, 0xffffff                               // 00000000A2A8: 8652FF52 00FFFFFF
	s_cmp_lt_u32 s82, s66                                      // 00000000A2B0: BF0A4252
	s_cselect_b32 s21, s36, s60                                // 00000000A2B4: 85153C24
	s_mov_b64 exec, s[20:21]                                   // 00000000A2B8: BEFE0114
	buffer_store_dword v90, v6, s[8:11], 0 offen               // 00000000A2BC: E0701000 80025A06
	s_mov_b64 exec, s[36:37]                                   // 00000000A2C4: BEFE0124
	v_mov_b32_e32 v6, v73                                      // 00000000A2C8: 7E0C0349
	s_mov_b64 s[60:61], 0                                      // 00000000A2CC: BEBC0180
	v_readlane_b32 s82, v3, 22                                 // 00000000A2D0: D2890052 00012D03
	s_and_b32 s82, s82, 0xffffff                               // 00000000A2D8: 8652FF52 00FFFFFF
	s_cmp_lt_u32 s82, s66                                      // 00000000A2E0: BF0A4252
	s_cselect_b32 s20, s36, s60                                // 00000000A2E4: 85143C24
	v_readlane_b32 s82, v3, 23                                 // 00000000A2E8: D2890052 00012F03
	s_and_b32 s82, s82, 0xffffff                               // 00000000A2F0: 8652FF52 00FFFFFF
	s_cmp_lt_u32 s82, s66                                      // 00000000A2F8: BF0A4252
	s_cselect_b32 s21, s36, s60                                // 00000000A2FC: 85153C24
	s_mov_b64 exec, s[20:21]                                   // 00000000A300: BEFE0114
	buffer_store_dword v91, v6, s[8:11], 0 offen               // 00000000A304: E0701000 80025B06
	s_mov_b64 exec, s[36:37]                                   // 00000000A30C: BEFE0124
	v_mov_b32_e32 v6, v74                                      // 00000000A310: 7E0C034A
	s_mov_b64 s[60:61], 0                                      // 00000000A314: BEBC0180
	v_readlane_b32 s82, v3, 24                                 // 00000000A318: D2890052 00013103
	s_and_b32 s82, s82, 0xffffff                               // 00000000A320: 8652FF52 00FFFFFF
	s_cmp_lt_u32 s82, s66                                      // 00000000A328: BF0A4252
	s_cselect_b32 s20, s36, s60                                // 00000000A32C: 85143C24
	v_readlane_b32 s82, v3, 25                                 // 00000000A330: D2890052 00013303
	s_and_b32 s82, s82, 0xffffff                               // 00000000A338: 8652FF52 00FFFFFF
	s_cmp_lt_u32 s82, s66                                      // 00000000A340: BF0A4252
	s_cselect_b32 s21, s36, s60                                // 00000000A344: 85153C24
	s_mov_b64 exec, s[20:21]                                   // 00000000A348: BEFE0114
	buffer_store_dword v92, v6, s[8:11], 0 offen               // 00000000A34C: E0701000 80025C06
	s_mov_b64 exec, s[36:37]                                   // 00000000A354: BEFE0124
	v_mov_b32_e32 v6, v75                                      // 00000000A358: 7E0C034B
	s_mov_b64 s[60:61], 0                                      // 00000000A35C: BEBC0180
	v_readlane_b32 s82, v3, 26                                 // 00000000A360: D2890052 00013503
	s_and_b32 s82, s82, 0xffffff                               // 00000000A368: 8652FF52 00FFFFFF
	s_cmp_lt_u32 s82, s66                                      // 00000000A370: BF0A4252
	s_cselect_b32 s20, s36, s60                                // 00000000A374: 85143C24
	v_readlane_b32 s82, v3, 27                                 // 00000000A378: D2890052 00013703
	s_and_b32 s82, s82, 0xffffff                               // 00000000A380: 8652FF52 00FFFFFF
	s_cmp_lt_u32 s82, s66                                      // 00000000A388: BF0A4252
	s_cselect_b32 s21, s36, s60                                // 00000000A38C: 85153C24
	s_mov_b64 exec, s[20:21]                                   // 00000000A390: BEFE0114
	buffer_store_dword v93, v6, s[8:11], 0 offen               // 00000000A394: E0701000 80025D06
	s_mov_b64 exec, s[36:37]                                   // 00000000A39C: BEFE0124
	v_mov_b32_e32 v6, v76                                      // 00000000A3A0: 7E0C034C
	s_mov_b64 s[60:61], 0                                      // 00000000A3A4: BEBC0180
	v_readlane_b32 s82, v3, 28                                 // 00000000A3A8: D2890052 00013903
	s_and_b32 s82, s82, 0xffffff                               // 00000000A3B0: 8652FF52 00FFFFFF
	s_cmp_lt_u32 s82, s66                                      // 00000000A3B8: BF0A4252
	s_cselect_b32 s20, s36, s60                                // 00000000A3BC: 85143C24
	v_readlane_b32 s82, v3, 29                                 // 00000000A3C0: D2890052 00013B03
	s_and_b32 s82, s82, 0xffffff                               // 00000000A3C8: 8652FF52 00FFFFFF
	s_cmp_lt_u32 s82, s66                                      // 00000000A3D0: BF0A4252
	s_cselect_b32 s21, s36, s60                                // 00000000A3D4: 85153C24
	s_mov_b64 exec, s[20:21]                                   // 00000000A3D8: BEFE0114
	buffer_store_dword v94, v6, s[8:11], 0 offen               // 00000000A3DC: E0701000 80025E06
	s_mov_b64 exec, s[36:37]                                   // 00000000A3E4: BEFE0124
	v_mov_b32_e32 v6, v77                                      // 00000000A3E8: 7E0C034D
	s_mov_b64 s[60:61], 0                                      // 00000000A3EC: BEBC0180
	v_readlane_b32 s82, v3, 30                                 // 00000000A3F0: D2890052 00013D03
	s_and_b32 s82, s82, 0xffffff                               // 00000000A3F8: 8652FF52 00FFFFFF
	s_cmp_lt_u32 s82, s66                                      // 00000000A400: BF0A4252
	s_cselect_b32 s20, s36, s60                                // 00000000A404: 85143C24
	v_readlane_b32 s82, v3, 31                                 // 00000000A408: D2890052 00013F03
	s_and_b32 s82, s82, 0xffffff                               // 00000000A410: 8652FF52 00FFFFFF
	s_cmp_lt_u32 s82, s66                                      // 00000000A418: BF0A4252
	s_cselect_b32 s21, s36, s60                                // 00000000A41C: 85153C24
	s_mov_b64 exec, s[20:21]                                   // 00000000A420: BEFE0114
	buffer_store_dword v95, v6, s[8:11], 0 offen               // 00000000A424: E0701000 80025F06
	s_mov_b64 exec, s[36:37]                                   // 00000000A42C: BEFE0124
	s_cmp_eq_u32 s7, 0                                         // 00000000A430: BF068007
	s_cbranch_scc0 label_4A48                                  // 00000000A434: BF842BB7
	s_waitcnt vmcnt(16)                                        // 00000000A438: BF8C4F70
	s_mov_b32 s8, s90                                          // 00000000A43C: BE88005A
	s_mov_b32 s9, s91                                          // 00000000A440: BE89005B
	s_mul_i32 s60, s66, s71                                    // 00000000A444: 923C4742
	s_add_u32 s8, s60, s8                                      // 00000000A448: 8008083C
	s_addc_u32 s9, 0, s9                                       // 00000000A44C: 82090980
	s_lshr_b32 s71, s71, 5                                     // 00000000A450: 8F478547
	s_mul_i32 s60, s66, s71                                    // 00000000A454: 923C4742
	s_mov_b32 s10, s60                                         // 00000000A458: BE8A003C
	s_lshr_b32 s61, s65, 5                                     // 00000000A45C: 8F3D8541
	s_mul_i32 s60, s2, 4                                       // 00000000A460: 923C8402
	v_lshrrev_b32_e32 v4, 24, v30                              // 00000000A464: 20083C98
	v_mul_lo_u32 v4, s61, v4                                   // 00000000A468: D2850004 0002083D
	v_and_b32_e32 v30, 0xffffff, v30                           // 00000000A470: 263C3CFF 00FFFFFF
	v_mul_lo_u32 v30, s71, v30                                 // 00000000A478: D285001E 00023C47
	v_add_u32_e32 v30, v4, v30                                 // 00000000A480: 683C3D04
	v_add_u32_e32 v30, s60, v30                                // 00000000A484: 683C3C3C
	v_lshrrev_b32_e32 v4, 24, v31                              // 00000000A488: 20083E98
	v_mul_lo_u32 v4, s61, v4                                   // 00000000A48C: D2850004 0002083D
	v_and_b32_e32 v31, 0xffffff, v31                           // 00000000A494: 263E3EFF 00FFFFFF
	v_mul_lo_u32 v31, s71, v31                                 // 00000000A49C: D285001F 00023E47
	v_add_u32_e32 v31, v4, v31                                 // 00000000A4A4: 683E3F04
	v_add_u32_e32 v31, s60, v31                                // 00000000A4A8: 683E3E3C
	v_lshrrev_b32_e32 v4, 24, v32                              // 00000000A4AC: 20084098
	v_mul_lo_u32 v4, s61, v4                                   // 00000000A4B0: D2850004 0002083D
	v_and_b32_e32 v32, 0xffffff, v32                           // 00000000A4B8: 264040FF 00FFFFFF
	v_mul_lo_u32 v32, s71, v32                                 // 00000000A4C0: D2850020 00024047
	v_add_u32_e32 v32, v4, v32                                 // 00000000A4C8: 68404104
	v_add_u32_e32 v32, s60, v32                                // 00000000A4CC: 6840403C
	v_lshrrev_b32_e32 v4, 24, v33                              // 00000000A4D0: 20084298
	v_mul_lo_u32 v4, s61, v4                                   // 00000000A4D4: D2850004 0002083D
	v_and_b32_e32 v33, 0xffffff, v33                           // 00000000A4DC: 264242FF 00FFFFFF
	v_mul_lo_u32 v33, s71, v33                                 // 00000000A4E4: D2850021 00024247
	v_add_u32_e32 v33, v4, v33                                 // 00000000A4EC: 68424304
	v_add_u32_e32 v33, s60, v33                                // 00000000A4F0: 6842423C
	v_lshrrev_b32_e32 v4, 24, v34                              // 00000000A4F4: 20084498
	v_mul_lo_u32 v4, s61, v4                                   // 00000000A4F8: D2850004 0002083D
	v_and_b32_e32 v34, 0xffffff, v34                           // 00000000A500: 264444FF 00FFFFFF
	v_mul_lo_u32 v34, s71, v34                                 // 00000000A508: D2850022 00024447
	v_add_u32_e32 v34, v4, v34                                 // 00000000A510: 68444504
	v_add_u32_e32 v34, s60, v34                                // 00000000A514: 6844443C
	v_lshrrev_b32_e32 v4, 24, v35                              // 00000000A518: 20084698
	v_mul_lo_u32 v4, s61, v4                                   // 00000000A51C: D2850004 0002083D
	v_and_b32_e32 v35, 0xffffff, v35                           // 00000000A524: 264646FF 00FFFFFF
	v_mul_lo_u32 v35, s71, v35                                 // 00000000A52C: D2850023 00024647
	v_add_u32_e32 v35, v4, v35                                 // 00000000A534: 68464704
	v_add_u32_e32 v35, s60, v35                                // 00000000A538: 6846463C
	v_lshrrev_b32_e32 v4, 24, v36                              // 00000000A53C: 20084898
	v_mul_lo_u32 v4, s61, v4                                   // 00000000A540: D2850004 0002083D
	v_and_b32_e32 v36, 0xffffff, v36                           // 00000000A548: 264848FF 00FFFFFF
	v_mul_lo_u32 v36, s71, v36                                 // 00000000A550: D2850024 00024847
	v_add_u32_e32 v36, v4, v36                                 // 00000000A558: 68484904
	v_add_u32_e32 v36, s60, v36                                // 00000000A55C: 6848483C
	v_lshrrev_b32_e32 v4, 24, v37                              // 00000000A560: 20084A98
	v_mul_lo_u32 v4, s61, v4                                   // 00000000A564: D2850004 0002083D
	v_and_b32_e32 v37, 0xffffff, v37                           // 00000000A56C: 264A4AFF 00FFFFFF
	v_mul_lo_u32 v37, s71, v37                                 // 00000000A574: D2850025 00024A47
	v_add_u32_e32 v37, v4, v37                                 // 00000000A57C: 684A4B04
	v_add_u32_e32 v37, s60, v37                                // 00000000A580: 684A4A3C
	s_mov_b64 exec, 0xffff                                     // 00000000A584: BEFE01FF 0000FFFF
	buffer_store_dword v144, v30, s[8:11], 0 offen             // 00000000A58C: E0701000 8002901E
	buffer_store_dword v145, v31, s[8:11], 0 offen             // 00000000A594: E0701000 8002911F
	buffer_store_dword v146, v32, s[8:11], 0 offen             // 00000000A59C: E0701000 80029220
	buffer_store_dword v147, v33, s[8:11], 0 offen             // 00000000A5A4: E0701000 80029321
	buffer_store_dword v148, v34, s[8:11], 0 offen             // 00000000A5AC: E0701000 80029422
	buffer_store_dword v149, v35, s[8:11], 0 offen             // 00000000A5B4: E0701000 80029523
	buffer_store_dword v150, v36, s[8:11], 0 offen             // 00000000A5BC: E0701000 80029624
	buffer_store_dword v151, v37, s[8:11], 0 offen             // 00000000A5C4: E0701000 80029725
	s_mov_b64 exec, s[36:37]                                   // 00000000A5CC: BEFE0124
	s_branch label_4A48                                        // 00000000A5D0: BF822B50

000000000000a5d4 <label_1EF5>:
	ds_write_b64 v20, v[80:81]                                 // 00000000A5D4: D89A0000 00005014
	ds_write_b64 v20, v[84:85] offset:4352                     // 00000000A5DC: D89A1100 00005414
	ds_write_b64 v20, v[88:89] offset:8704                     // 00000000A5E4: D89A2200 00005814
	ds_write_b64 v20, v[92:93] offset:13056                    // 00000000A5EC: D89A3300 00005C14
	ds_write_b64 v20, v[96:97] offset:17408                    // 00000000A5F4: D89A4400 00006014
	ds_write_b64 v20, v[100:101] offset:21760                  // 00000000A5FC: D89A5500 00006414
	ds_write_b64 v20, v[104:105] offset:26112                  // 00000000A604: D89A6600 00006814
	ds_write_b64 v20, v[108:109] offset:30464                  // 00000000A60C: D89A7700 00006C14
	ds_write_b64 v20, v[112:113] offset:2176                   // 00000000A614: D89A0880 00007014
	ds_write_b64 v20, v[116:117] offset:6528                   // 00000000A61C: D89A1980 00007414
	ds_write_b64 v20, v[120:121] offset:10880                  // 00000000A624: D89A2A80 00007814
	ds_write_b64 v20, v[124:125] offset:15232                  // 00000000A62C: D89A3B80 00007C14
	ds_write_b64 v20, v[128:129] offset:19584                  // 00000000A634: D89A4C80 00008014
	ds_write_b64 v20, v[132:133] offset:23936                  // 00000000A63C: D89A5D80 00008414
	ds_write_b64 v20, v[136:137] offset:28288                  // 00000000A644: D89A6E80 00008814
	ds_write_b64 v20, v[140:141] offset:32640                  // 00000000A64C: D89A7F80 00008C14
	v_lshrrev_b32_e32 v4, 5, v0                                // 00000000A654: 20080085
	v_xor_b32_e32 v5, 1, v4                                    // 00000000A658: 2A0A0881
	s_mul_i32 s60, s65, 1                                      // 00000000A65C: 923C8141
	s_cmp_eq_u32 s88, 0                                        // 00000000A660: BF068058
	s_cselect_b32 s61, 1, 8                                    // 00000000A664: 853D8881
	s_mul_i32 s60, s61, s60                                    // 00000000A668: 923C3C3D
	v_readlane_b32 s82, v3, 0                                  // 00000000A66C: D2890052 00010103
	s_lshr_b32 s61, s82, 24                                    // 00000000A674: 8F3D9852
	s_and_b32 s82, s82, 0xffffff                               // 00000000A678: 8652FF52 00FFFFFF
	s_mul_i32 s82, s82, s71                                    // 00000000A680: 92524752
	s_mul_i32 s61, s60, s61                                    // 00000000A684: 923D3D3C
	s_add_u32 s82, s82, s61                                    // 00000000A688: 80523D52
	v_mul_lo_u32 v6, v5, s82                                   // 00000000A68C: D2850006 0000A505
	v_readlane_b32 s82, v3, 1                                  // 00000000A694: D2890052 00010303
	s_lshr_b32 s61, s82, 24                                    // 00000000A69C: 8F3D9852
	s_and_b32 s82, s82, 0xffffff                               // 00000000A6A0: 8652FF52 00FFFFFF
	s_mul_i32 s82, s82, s71                                    // 00000000A6A8: 92524752
	s_mul_i32 s61, s60, s61                                    // 00000000A6AC: 923D3D3C
	s_add_u32 s82, s82, s61                                    // 00000000A6B0: 80523D52
	v_mul_lo_u32 v7, v4, s82                                   // 00000000A6B4: D2850007 0000A504
	v_add_u32_e32 v62, v6, v7                                  // 00000000A6BC: 687C0F06
	v_readlane_b32 s82, v3, 2                                  // 00000000A6C0: D2890052 00010503
	s_lshr_b32 s61, s82, 24                                    // 00000000A6C8: 8F3D9852
	s_and_b32 s82, s82, 0xffffff                               // 00000000A6CC: 8652FF52 00FFFFFF
	s_mul_i32 s82, s82, s71                                    // 00000000A6D4: 92524752
	s_mul_i32 s61, s60, s61                                    // 00000000A6D8: 923D3D3C
	s_add_u32 s82, s82, s61                                    // 00000000A6DC: 80523D52
	v_mul_lo_u32 v6, v5, s82                                   // 00000000A6E0: D2850006 0000A505
	v_readlane_b32 s82, v3, 3                                  // 00000000A6E8: D2890052 00010703
	s_lshr_b32 s61, s82, 24                                    // 00000000A6F0: 8F3D9852
	s_and_b32 s82, s82, 0xffffff                               // 00000000A6F4: 8652FF52 00FFFFFF
	s_mul_i32 s82, s82, s71                                    // 00000000A6FC: 92524752
	s_mul_i32 s61, s60, s61                                    // 00000000A700: 923D3D3C
	s_add_u32 s82, s82, s61                                    // 00000000A704: 80523D52
	v_mul_lo_u32 v7, v4, s82                                   // 00000000A708: D2850007 0000A504
	v_add_u32_e32 v63, v6, v7                                  // 00000000A710: 687E0F06
	v_readlane_b32 s82, v3, 4                                  // 00000000A714: D2890052 00010903
	s_lshr_b32 s61, s82, 24                                    // 00000000A71C: 8F3D9852
	s_and_b32 s82, s82, 0xffffff                               // 00000000A720: 8652FF52 00FFFFFF
	s_mul_i32 s82, s82, s71                                    // 00000000A728: 92524752
	s_mul_i32 s61, s60, s61                                    // 00000000A72C: 923D3D3C
	s_add_u32 s82, s82, s61                                    // 00000000A730: 80523D52
	v_mul_lo_u32 v6, v5, s82                                   // 00000000A734: D2850006 0000A505
	v_readlane_b32 s82, v3, 5                                  // 00000000A73C: D2890052 00010B03
	s_lshr_b32 s61, s82, 24                                    // 00000000A744: 8F3D9852
	s_and_b32 s82, s82, 0xffffff                               // 00000000A748: 8652FF52 00FFFFFF
	s_mul_i32 s82, s82, s71                                    // 00000000A750: 92524752
	s_mul_i32 s61, s60, s61                                    // 00000000A754: 923D3D3C
	s_add_u32 s82, s82, s61                                    // 00000000A758: 80523D52
	v_mul_lo_u32 v7, v4, s82                                   // 00000000A75C: D2850007 0000A504
	v_add_u32_e32 v64, v6, v7                                  // 00000000A764: 68800F06
	v_readlane_b32 s82, v3, 6                                  // 00000000A768: D2890052 00010D03
	s_lshr_b32 s61, s82, 24                                    // 00000000A770: 8F3D9852
	s_and_b32 s82, s82, 0xffffff                               // 00000000A774: 8652FF52 00FFFFFF
	s_mul_i32 s82, s82, s71                                    // 00000000A77C: 92524752
	s_mul_i32 s61, s60, s61                                    // 00000000A780: 923D3D3C
	s_add_u32 s82, s82, s61                                    // 00000000A784: 80523D52
	v_mul_lo_u32 v6, v5, s82                                   // 00000000A788: D2850006 0000A505
	v_readlane_b32 s82, v3, 7                                  // 00000000A790: D2890052 00010F03
	s_lshr_b32 s61, s82, 24                                    // 00000000A798: 8F3D9852
	s_and_b32 s82, s82, 0xffffff                               // 00000000A79C: 8652FF52 00FFFFFF
	s_mul_i32 s82, s82, s71                                    // 00000000A7A4: 92524752
	s_mul_i32 s61, s60, s61                                    // 00000000A7A8: 923D3D3C
	s_add_u32 s82, s82, s61                                    // 00000000A7AC: 80523D52
	v_mul_lo_u32 v7, v4, s82                                   // 00000000A7B0: D2850007 0000A504
	v_add_u32_e32 v65, v6, v7                                  // 00000000A7B8: 68820F06
	v_readlane_b32 s82, v3, 8                                  // 00000000A7BC: D2890052 00011103
	s_lshr_b32 s61, s82, 24                                    // 00000000A7C4: 8F3D9852
	s_and_b32 s82, s82, 0xffffff                               // 00000000A7C8: 8652FF52 00FFFFFF
	s_mul_i32 s82, s82, s71                                    // 00000000A7D0: 92524752
	s_mul_i32 s61, s60, s61                                    // 00000000A7D4: 923D3D3C
	s_add_u32 s82, s82, s61                                    // 00000000A7D8: 80523D52
	v_mul_lo_u32 v6, v5, s82                                   // 00000000A7DC: D2850006 0000A505
	v_readlane_b32 s82, v3, 9                                  // 00000000A7E4: D2890052 00011303
	s_lshr_b32 s61, s82, 24                                    // 00000000A7EC: 8F3D9852
	s_and_b32 s82, s82, 0xffffff                               // 00000000A7F0: 8652FF52 00FFFFFF
	s_mul_i32 s82, s82, s71                                    // 00000000A7F8: 92524752
	s_mul_i32 s61, s60, s61                                    // 00000000A7FC: 923D3D3C
	s_add_u32 s82, s82, s61                                    // 00000000A800: 80523D52
	v_mul_lo_u32 v7, v4, s82                                   // 00000000A804: D2850007 0000A504
	v_add_u32_e32 v66, v6, v7                                  // 00000000A80C: 68840F06
	v_readlane_b32 s82, v3, 10                                 // 00000000A810: D2890052 00011503
	s_lshr_b32 s61, s82, 24                                    // 00000000A818: 8F3D9852
	s_and_b32 s82, s82, 0xffffff                               // 00000000A81C: 8652FF52 00FFFFFF
	s_mul_i32 s82, s82, s71                                    // 00000000A824: 92524752
	s_mul_i32 s61, s60, s61                                    // 00000000A828: 923D3D3C
	s_add_u32 s82, s82, s61                                    // 00000000A82C: 80523D52
	v_mul_lo_u32 v6, v5, s82                                   // 00000000A830: D2850006 0000A505
	v_readlane_b32 s82, v3, 11                                 // 00000000A838: D2890052 00011703
	s_lshr_b32 s61, s82, 24                                    // 00000000A840: 8F3D9852
	s_and_b32 s82, s82, 0xffffff                               // 00000000A844: 8652FF52 00FFFFFF
	s_mul_i32 s82, s82, s71                                    // 00000000A84C: 92524752
	s_mul_i32 s61, s60, s61                                    // 00000000A850: 923D3D3C
	s_add_u32 s82, s82, s61                                    // 00000000A854: 80523D52
	v_mul_lo_u32 v7, v4, s82                                   // 00000000A858: D2850007 0000A504
	v_add_u32_e32 v67, v6, v7                                  // 00000000A860: 68860F06
	v_readlane_b32 s82, v3, 12                                 // 00000000A864: D2890052 00011903
	s_lshr_b32 s61, s82, 24                                    // 00000000A86C: 8F3D9852
	s_and_b32 s82, s82, 0xffffff                               // 00000000A870: 8652FF52 00FFFFFF
	s_mul_i32 s82, s82, s71                                    // 00000000A878: 92524752
	s_mul_i32 s61, s60, s61                                    // 00000000A87C: 923D3D3C
	s_add_u32 s82, s82, s61                                    // 00000000A880: 80523D52
	v_mul_lo_u32 v6, v5, s82                                   // 00000000A884: D2850006 0000A505
	v_readlane_b32 s82, v3, 13                                 // 00000000A88C: D2890052 00011B03
	s_lshr_b32 s61, s82, 24                                    // 00000000A894: 8F3D9852
	s_and_b32 s82, s82, 0xffffff                               // 00000000A898: 8652FF52 00FFFFFF
	s_mul_i32 s82, s82, s71                                    // 00000000A8A0: 92524752
	s_mul_i32 s61, s60, s61                                    // 00000000A8A4: 923D3D3C
	s_add_u32 s82, s82, s61                                    // 00000000A8A8: 80523D52
	v_mul_lo_u32 v7, v4, s82                                   // 00000000A8AC: D2850007 0000A504
	v_add_u32_e32 v68, v6, v7                                  // 00000000A8B4: 68880F06
	v_readlane_b32 s82, v3, 14                                 // 00000000A8B8: D2890052 00011D03
	s_lshr_b32 s61, s82, 24                                    // 00000000A8C0: 8F3D9852
	s_and_b32 s82, s82, 0xffffff                               // 00000000A8C4: 8652FF52 00FFFFFF
	s_mul_i32 s82, s82, s71                                    // 00000000A8CC: 92524752
	s_mul_i32 s61, s60, s61                                    // 00000000A8D0: 923D3D3C
	s_add_u32 s82, s82, s61                                    // 00000000A8D4: 80523D52
	v_mul_lo_u32 v6, v5, s82                                   // 00000000A8D8: D2850006 0000A505
	v_readlane_b32 s82, v3, 15                                 // 00000000A8E0: D2890052 00011F03
	s_lshr_b32 s61, s82, 24                                    // 00000000A8E8: 8F3D9852
	s_and_b32 s82, s82, 0xffffff                               // 00000000A8EC: 8652FF52 00FFFFFF
	s_mul_i32 s82, s82, s71                                    // 00000000A8F4: 92524752
	s_mul_i32 s61, s60, s61                                    // 00000000A8F8: 923D3D3C
	s_add_u32 s82, s82, s61                                    // 00000000A8FC: 80523D52
	v_mul_lo_u32 v7, v4, s82                                   // 00000000A900: D2850007 0000A504
	v_add_u32_e32 v69, v6, v7                                  // 00000000A908: 688A0F06
	v_readlane_b32 s82, v3, 16                                 // 00000000A90C: D2890052 00012103
	s_lshr_b32 s61, s82, 24                                    // 00000000A914: 8F3D9852
	s_and_b32 s82, s82, 0xffffff                               // 00000000A918: 8652FF52 00FFFFFF
	s_mul_i32 s82, s82, s71                                    // 00000000A920: 92524752
	s_mul_i32 s61, s60, s61                                    // 00000000A924: 923D3D3C
	s_add_u32 s82, s82, s61                                    // 00000000A928: 80523D52
	v_mul_lo_u32 v6, v5, s82                                   // 00000000A92C: D2850006 0000A505
	v_readlane_b32 s82, v3, 17                                 // 00000000A934: D2890052 00012303
	s_lshr_b32 s61, s82, 24                                    // 00000000A93C: 8F3D9852
	s_and_b32 s82, s82, 0xffffff                               // 00000000A940: 8652FF52 00FFFFFF
	s_mul_i32 s82, s82, s71                                    // 00000000A948: 92524752
	s_mul_i32 s61, s60, s61                                    // 00000000A94C: 923D3D3C
	s_add_u32 s82, s82, s61                                    // 00000000A950: 80523D52
	v_mul_lo_u32 v7, v4, s82                                   // 00000000A954: D2850007 0000A504
	v_add_u32_e32 v70, v6, v7                                  // 00000000A95C: 688C0F06
	v_readlane_b32 s82, v3, 18                                 // 00000000A960: D2890052 00012503
	s_lshr_b32 s61, s82, 24                                    // 00000000A968: 8F3D9852
	s_and_b32 s82, s82, 0xffffff                               // 00000000A96C: 8652FF52 00FFFFFF
	s_mul_i32 s82, s82, s71                                    // 00000000A974: 92524752
	s_mul_i32 s61, s60, s61                                    // 00000000A978: 923D3D3C
	s_add_u32 s82, s82, s61                                    // 00000000A97C: 80523D52
	v_mul_lo_u32 v6, v5, s82                                   // 00000000A980: D2850006 0000A505
	v_readlane_b32 s82, v3, 19                                 // 00000000A988: D2890052 00012703
	s_lshr_b32 s61, s82, 24                                    // 00000000A990: 8F3D9852
	s_and_b32 s82, s82, 0xffffff                               // 00000000A994: 8652FF52 00FFFFFF
	s_mul_i32 s82, s82, s71                                    // 00000000A99C: 92524752
	s_mul_i32 s61, s60, s61                                    // 00000000A9A0: 923D3D3C
	s_add_u32 s82, s82, s61                                    // 00000000A9A4: 80523D52
	v_mul_lo_u32 v7, v4, s82                                   // 00000000A9A8: D2850007 0000A504
	v_add_u32_e32 v71, v6, v7                                  // 00000000A9B0: 688E0F06
	v_readlane_b32 s82, v3, 20                                 // 00000000A9B4: D2890052 00012903
	s_lshr_b32 s61, s82, 24                                    // 00000000A9BC: 8F3D9852
	s_and_b32 s82, s82, 0xffffff                               // 00000000A9C0: 8652FF52 00FFFFFF
	s_mul_i32 s82, s82, s71                                    // 00000000A9C8: 92524752
	s_mul_i32 s61, s60, s61                                    // 00000000A9CC: 923D3D3C
	s_add_u32 s82, s82, s61                                    // 00000000A9D0: 80523D52
	v_mul_lo_u32 v6, v5, s82                                   // 00000000A9D4: D2850006 0000A505
	v_readlane_b32 s82, v3, 21                                 // 00000000A9DC: D2890052 00012B03
	s_lshr_b32 s61, s82, 24                                    // 00000000A9E4: 8F3D9852
	s_and_b32 s82, s82, 0xffffff                               // 00000000A9E8: 8652FF52 00FFFFFF
	s_mul_i32 s82, s82, s71                                    // 00000000A9F0: 92524752
	s_mul_i32 s61, s60, s61                                    // 00000000A9F4: 923D3D3C
	s_add_u32 s82, s82, s61                                    // 00000000A9F8: 80523D52
	v_mul_lo_u32 v7, v4, s82                                   // 00000000A9FC: D2850007 0000A504
	v_add_u32_e32 v72, v6, v7                                  // 00000000AA04: 68900F06
	v_readlane_b32 s82, v3, 22                                 // 00000000AA08: D2890052 00012D03
	s_lshr_b32 s61, s82, 24                                    // 00000000AA10: 8F3D9852
	s_and_b32 s82, s82, 0xffffff                               // 00000000AA14: 8652FF52 00FFFFFF
	s_mul_i32 s82, s82, s71                                    // 00000000AA1C: 92524752
	s_mul_i32 s61, s60, s61                                    // 00000000AA20: 923D3D3C
	s_add_u32 s82, s82, s61                                    // 00000000AA24: 80523D52
	v_mul_lo_u32 v6, v5, s82                                   // 00000000AA28: D2850006 0000A505
	v_readlane_b32 s82, v3, 23                                 // 00000000AA30: D2890052 00012F03
	s_lshr_b32 s61, s82, 24                                    // 00000000AA38: 8F3D9852
	s_and_b32 s82, s82, 0xffffff                               // 00000000AA3C: 8652FF52 00FFFFFF
	s_mul_i32 s82, s82, s71                                    // 00000000AA44: 92524752
	s_mul_i32 s61, s60, s61                                    // 00000000AA48: 923D3D3C
	s_add_u32 s82, s82, s61                                    // 00000000AA4C: 80523D52
	v_mul_lo_u32 v7, v4, s82                                   // 00000000AA50: D2850007 0000A504
	v_add_u32_e32 v73, v6, v7                                  // 00000000AA58: 68920F06
	v_readlane_b32 s82, v3, 24                                 // 00000000AA5C: D2890052 00013103
	s_lshr_b32 s61, s82, 24                                    // 00000000AA64: 8F3D9852
	s_and_b32 s82, s82, 0xffffff                               // 00000000AA68: 8652FF52 00FFFFFF
	s_mul_i32 s82, s82, s71                                    // 00000000AA70: 92524752
	s_mul_i32 s61, s60, s61                                    // 00000000AA74: 923D3D3C
	s_add_u32 s82, s82, s61                                    // 00000000AA78: 80523D52
	v_mul_lo_u32 v6, v5, s82                                   // 00000000AA7C: D2850006 0000A505
	v_readlane_b32 s82, v3, 25                                 // 00000000AA84: D2890052 00013303
	s_lshr_b32 s61, s82, 24                                    // 00000000AA8C: 8F3D9852
	s_and_b32 s82, s82, 0xffffff                               // 00000000AA90: 8652FF52 00FFFFFF
	s_mul_i32 s82, s82, s71                                    // 00000000AA98: 92524752
	s_mul_i32 s61, s60, s61                                    // 00000000AA9C: 923D3D3C
	s_add_u32 s82, s82, s61                                    // 00000000AAA0: 80523D52
	v_mul_lo_u32 v7, v4, s82                                   // 00000000AAA4: D2850007 0000A504
	v_add_u32_e32 v74, v6, v7                                  // 00000000AAAC: 68940F06
	v_readlane_b32 s82, v3, 26                                 // 00000000AAB0: D2890052 00013503
	s_lshr_b32 s61, s82, 24                                    // 00000000AAB8: 8F3D9852
	s_and_b32 s82, s82, 0xffffff                               // 00000000AABC: 8652FF52 00FFFFFF
	s_mul_i32 s82, s82, s71                                    // 00000000AAC4: 92524752
	s_mul_i32 s61, s60, s61                                    // 00000000AAC8: 923D3D3C
	s_add_u32 s82, s82, s61                                    // 00000000AACC: 80523D52
	v_mul_lo_u32 v6, v5, s82                                   // 00000000AAD0: D2850006 0000A505
	v_readlane_b32 s82, v3, 27                                 // 00000000AAD8: D2890052 00013703
	s_lshr_b32 s61, s82, 24                                    // 00000000AAE0: 8F3D9852
	s_and_b32 s82, s82, 0xffffff                               // 00000000AAE4: 8652FF52 00FFFFFF
	s_mul_i32 s82, s82, s71                                    // 00000000AAEC: 92524752
	s_mul_i32 s61, s60, s61                                    // 00000000AAF0: 923D3D3C
	s_add_u32 s82, s82, s61                                    // 00000000AAF4: 80523D52
	v_mul_lo_u32 v7, v4, s82                                   // 00000000AAF8: D2850007 0000A504
	v_add_u32_e32 v75, v6, v7                                  // 00000000AB00: 68960F06
	v_readlane_b32 s82, v3, 28                                 // 00000000AB04: D2890052 00013903
	s_lshr_b32 s61, s82, 24                                    // 00000000AB0C: 8F3D9852
	s_and_b32 s82, s82, 0xffffff                               // 00000000AB10: 8652FF52 00FFFFFF
	s_mul_i32 s82, s82, s71                                    // 00000000AB18: 92524752
	s_mul_i32 s61, s60, s61                                    // 00000000AB1C: 923D3D3C
	s_add_u32 s82, s82, s61                                    // 00000000AB20: 80523D52
	v_mul_lo_u32 v6, v5, s82                                   // 00000000AB24: D2850006 0000A505
	v_readlane_b32 s82, v3, 29                                 // 00000000AB2C: D2890052 00013B03
	s_lshr_b32 s61, s82, 24                                    // 00000000AB34: 8F3D9852
	s_and_b32 s82, s82, 0xffffff                               // 00000000AB38: 8652FF52 00FFFFFF
	s_mul_i32 s82, s82, s71                                    // 00000000AB40: 92524752
	s_mul_i32 s61, s60, s61                                    // 00000000AB44: 923D3D3C
	s_add_u32 s82, s82, s61                                    // 00000000AB48: 80523D52
	v_mul_lo_u32 v7, v4, s82                                   // 00000000AB4C: D2850007 0000A504
	v_add_u32_e32 v76, v6, v7                                  // 00000000AB54: 68980F06
	v_readlane_b32 s82, v3, 30                                 // 00000000AB58: D2890052 00013D03
	s_lshr_b32 s61, s82, 24                                    // 00000000AB60: 8F3D9852
	s_and_b32 s82, s82, 0xffffff                               // 00000000AB64: 8652FF52 00FFFFFF
	s_mul_i32 s82, s82, s71                                    // 00000000AB6C: 92524752
	s_mul_i32 s61, s60, s61                                    // 00000000AB70: 923D3D3C
	s_add_u32 s82, s82, s61                                    // 00000000AB74: 80523D52
	v_mul_lo_u32 v6, v5, s82                                   // 00000000AB78: D2850006 0000A505
	v_readlane_b32 s82, v3, 31                                 // 00000000AB80: D2890052 00013F03
	s_lshr_b32 s61, s82, 24                                    // 00000000AB88: 8F3D9852
	s_and_b32 s82, s82, 0xffffff                               // 00000000AB8C: 8652FF52 00FFFFFF
	s_mul_i32 s82, s82, s71                                    // 00000000AB94: 92524752
	s_mul_i32 s61, s60, s61                                    // 00000000AB98: 923D3D3C
	s_add_u32 s82, s82, s61                                    // 00000000AB9C: 80523D52
	v_mul_lo_u32 v7, v4, s82                                   // 00000000ABA0: D2850007 0000A504
	v_add_u32_e32 v77, v6, v7                                  // 00000000ABA8: 689A0F06
	v_and_b32_e32 v4, 31, v0                                   // 00000000ABAC: 2608009F
	v_lshrrev_b32_e32 v4, 1, v4                                // 00000000ABB0: 20080881
	s_cmp_eq_u32 s88, 0                                        // 00000000ABB4: BF068058
	s_cselect_b32 s61, 2, 4                                    // 00000000ABB8: 853D8482
	v_mul_lo_u32 v4, v4, s61                                   // 00000000ABBC: D2850004 00007B04
	v_and_b32_e64 v5, v0, 1                                    // 00000000ABC4: D1130005 00010300
	v_add_u32_e32 v4, v4, v5                                   // 00000000ABCC: 68080B04
	v_lshlrev_b32_e32 v4, 2, v4                                // 00000000ABD0: 24080882
	v_add_u32_e32 v62, v62, v4                                 // 00000000ABD4: 687C093E
	v_add_u32_e32 v63, v63, v4                                 // 00000000ABD8: 687E093F
	v_add_u32_e32 v64, v64, v4                                 // 00000000ABDC: 68800940
	v_add_u32_e32 v65, v65, v4                                 // 00000000ABE0: 68820941
	v_add_u32_e32 v66, v66, v4                                 // 00000000ABE4: 68840942
	v_add_u32_e32 v67, v67, v4                                 // 00000000ABE8: 68860943
	v_add_u32_e32 v68, v68, v4                                 // 00000000ABEC: 68880944
	v_add_u32_e32 v69, v69, v4                                 // 00000000ABF0: 688A0945
	v_add_u32_e32 v70, v70, v4                                 // 00000000ABF4: 688C0946
	v_add_u32_e32 v71, v71, v4                                 // 00000000ABF8: 688E0947
	v_add_u32_e32 v72, v72, v4                                 // 00000000ABFC: 68900948
	v_add_u32_e32 v73, v73, v4                                 // 00000000AC00: 68920949
	v_add_u32_e32 v74, v74, v4                                 // 00000000AC04: 6894094A
	v_add_u32_e32 v75, v75, v4                                 // 00000000AC08: 6896094B
	v_add_u32_e32 v76, v76, v4                                 // 00000000AC0C: 6898094C
	v_add_u32_e32 v77, v77, v4                                 // 00000000AC10: 689A094D
	s_waitcnt lgkmcnt(0)                                       // 00000000AC14: BF8CC07F
	s_barrier                                                  // 00000000AC18: BF8A0000
	ds_read_b32 v80, v21                                       // 00000000AC1C: D86C0000 50000015
	ds_read_b32 v81, v21 offset:64                             // 00000000AC24: D86C0040 51000015
	ds_read_b32 v84, v21 offset:2176                           // 00000000AC2C: D86C0880 54000015
	ds_read_b32 v85, v21 offset:2240                           // 00000000AC34: D86C08C0 55000015
	ds_read_b32 v88, v21 offset:4352                           // 00000000AC3C: D86C1100 58000015
	ds_read_b32 v89, v21 offset:4416                           // 00000000AC44: D86C1140 59000015
	ds_read_b32 v92, v21 offset:6528                           // 00000000AC4C: D86C1980 5C000015
	ds_read_b32 v93, v21 offset:6592                           // 00000000AC54: D86C19C0 5D000015
	ds_read_b32 v96, v21 offset:8704                           // 00000000AC5C: D86C2200 60000015
	ds_read_b32 v97, v21 offset:8768                           // 00000000AC64: D86C2240 61000015
	ds_read_b32 v100, v21 offset:10880                         // 00000000AC6C: D86C2A80 64000015
	ds_read_b32 v101, v21 offset:10944                         // 00000000AC74: D86C2AC0 65000015
	ds_read_b32 v104, v21 offset:13056                         // 00000000AC7C: D86C3300 68000015
	ds_read_b32 v105, v21 offset:13120                         // 00000000AC84: D86C3340 69000015
	ds_read_b32 v108, v21 offset:15232                         // 00000000AC8C: D86C3B80 6C000015
	ds_read_b32 v109, v21 offset:15296                         // 00000000AC94: D86C3BC0 6D000015
	ds_read_b32 v112, v21 offset:17408                         // 00000000AC9C: D86C4400 70000015
	ds_read_b32 v113, v21 offset:17472                         // 00000000ACA4: D86C4440 71000015
	ds_read_b32 v116, v21 offset:19584                         // 00000000ACAC: D86C4C80 74000015
	ds_read_b32 v117, v21 offset:19648                         // 00000000ACB4: D86C4CC0 75000015
	ds_read_b32 v120, v21 offset:21760                         // 00000000ACBC: D86C5500 78000015
	ds_read_b32 v121, v21 offset:21824                         // 00000000ACC4: D86C5540 79000015
	ds_read_b32 v124, v21 offset:23936                         // 00000000ACCC: D86C5D80 7C000015
	ds_read_b32 v125, v21 offset:24000                         // 00000000ACD4: D86C5DC0 7D000015
	ds_read_b32 v128, v21 offset:26112                         // 00000000ACDC: D86C6600 80000015
	ds_read_b32 v129, v21 offset:26176                         // 00000000ACE4: D86C6640 81000015
	ds_read_b32 v132, v21 offset:28288                         // 00000000ACEC: D86C6E80 84000015
	ds_read_b32 v133, v21 offset:28352                         // 00000000ACF4: D86C6EC0 85000015
	ds_read_b32 v136, v21 offset:30464                         // 00000000ACFC: D86C7700 88000015
	ds_read_b32 v137, v21 offset:30528                         // 00000000AD04: D86C7740 89000015
	ds_read_b32 v140, v21 offset:32640                         // 00000000AD0C: D86C7F80 8C000015
	ds_read_b32 v141, v21 offset:32704                         // 00000000AD14: D86C7FC0 8D000015
	s_waitcnt lgkmcnt(0)                                       // 00000000AD1C: BF8CC07F
	s_mov_b32 s36, -1                                          // 00000000AD20: BEA400C1
	s_mov_b32 s37, -1                                          // 00000000AD24: BEA500C1
	v_mov_b32_e32 v7, 0                                        // 00000000AD28: 7E0E0280
	s_mov_b64 exec, s[36:37]                                   // 00000000AD2C: BEFE0124
	v_mov_b32_e32 v6, v62                                      // 00000000AD30: 7E0C033E
	s_mov_b64 s[60:61], 0                                      // 00000000AD34: BEBC0180
	v_readlane_b32 s82, v3, 0                                  // 00000000AD38: D2890052 00010103
	s_and_b32 s82, s82, 0xffffff                               // 00000000AD40: 8652FF52 00FFFFFF
	s_cmp_lt_u32 s82, s66                                      // 00000000AD48: BF0A4252
	s_cselect_b32 s20, s36, s60                                // 00000000AD4C: 85143C24
	v_readlane_b32 s82, v3, 1                                  // 00000000AD50: D2890052 00010303
	s_and_b32 s82, s82, 0xffffff                               // 00000000AD58: 8652FF52 00FFFFFF
	s_cmp_lt_u32 s82, s66                                      // 00000000AD60: BF0A4252
	s_cselect_b32 s21, s36, s60                                // 00000000AD64: 85153C24
	s_mov_b64 exec, s[20:21]                                   // 00000000AD68: BEFE0114
	global_atomic_add_f32 v6, v80, s[8:9]                      // 00000000AD6C: DD348000 00085006
	global_atomic_add_f32 v6, v84, s[8:9] offset:256           // 00000000AD74: DD348100 00085406
	s_mov_b64 exec, s[36:37]                                   // 00000000AD7C: BEFE0124
	v_mov_b32_e32 v6, v63                                      // 00000000AD80: 7E0C033F
	s_mov_b64 s[60:61], 0                                      // 00000000AD84: BEBC0180
	v_readlane_b32 s82, v3, 2                                  // 00000000AD88: D2890052 00010503
	s_and_b32 s82, s82, 0xffffff                               // 00000000AD90: 8652FF52 00FFFFFF
	s_cmp_lt_u32 s82, s66                                      // 00000000AD98: BF0A4252
	s_cselect_b32 s20, s36, s60                                // 00000000AD9C: 85143C24
	v_readlane_b32 s82, v3, 3                                  // 00000000ADA0: D2890052 00010703
	s_and_b32 s82, s82, 0xffffff                               // 00000000ADA8: 8652FF52 00FFFFFF
	s_cmp_lt_u32 s82, s66                                      // 00000000ADB0: BF0A4252
	s_cselect_b32 s21, s36, s60                                // 00000000ADB4: 85153C24
	s_mov_b64 exec, s[20:21]                                   // 00000000ADB8: BEFE0114
	global_atomic_add_f32 v6, v81, s[8:9]                      // 00000000ADBC: DD348000 00085106
	global_atomic_add_f32 v6, v85, s[8:9] offset:256           // 00000000ADC4: DD348100 00085506
	s_mov_b64 exec, s[36:37]                                   // 00000000ADCC: BEFE0124
	v_mov_b32_e32 v6, v64                                      // 00000000ADD0: 7E0C0340
	s_mov_b64 s[60:61], 0                                      // 00000000ADD4: BEBC0180
	v_readlane_b32 s82, v3, 4                                  // 00000000ADD8: D2890052 00010903
	s_and_b32 s82, s82, 0xffffff                               // 00000000ADE0: 8652FF52 00FFFFFF
	s_cmp_lt_u32 s82, s66                                      // 00000000ADE8: BF0A4252
	s_cselect_b32 s20, s36, s60                                // 00000000ADEC: 85143C24
	v_readlane_b32 s82, v3, 5                                  // 00000000ADF0: D2890052 00010B03
	s_and_b32 s82, s82, 0xffffff                               // 00000000ADF8: 8652FF52 00FFFFFF
	s_cmp_lt_u32 s82, s66                                      // 00000000AE00: BF0A4252
	s_cselect_b32 s21, s36, s60                                // 00000000AE04: 85153C24
	s_mov_b64 exec, s[20:21]                                   // 00000000AE08: BEFE0114
	global_atomic_add_f32 v6, v88, s[8:9]                      // 00000000AE0C: DD348000 00085806
	global_atomic_add_f32 v6, v92, s[8:9] offset:256           // 00000000AE14: DD348100 00085C06
	s_mov_b64 exec, s[36:37]                                   // 00000000AE1C: BEFE0124
	v_mov_b32_e32 v6, v65                                      // 00000000AE20: 7E0C0341
	s_mov_b64 s[60:61], 0                                      // 00000000AE24: BEBC0180
	v_readlane_b32 s82, v3, 6                                  // 00000000AE28: D2890052 00010D03
	s_and_b32 s82, s82, 0xffffff                               // 00000000AE30: 8652FF52 00FFFFFF
	s_cmp_lt_u32 s82, s66                                      // 00000000AE38: BF0A4252
	s_cselect_b32 s20, s36, s60                                // 00000000AE3C: 85143C24
	v_readlane_b32 s82, v3, 7                                  // 00000000AE40: D2890052 00010F03
	s_and_b32 s82, s82, 0xffffff                               // 00000000AE48: 8652FF52 00FFFFFF
	s_cmp_lt_u32 s82, s66                                      // 00000000AE50: BF0A4252
	s_cselect_b32 s21, s36, s60                                // 00000000AE54: 85153C24
	s_mov_b64 exec, s[20:21]                                   // 00000000AE58: BEFE0114
	global_atomic_add_f32 v6, v89, s[8:9]                      // 00000000AE5C: DD348000 00085906
	global_atomic_add_f32 v6, v93, s[8:9] offset:256           // 00000000AE64: DD348100 00085D06
	s_mov_b64 exec, s[36:37]                                   // 00000000AE6C: BEFE0124
	v_mov_b32_e32 v6, v66                                      // 00000000AE70: 7E0C0342
	s_mov_b64 s[60:61], 0                                      // 00000000AE74: BEBC0180
	v_readlane_b32 s82, v3, 8                                  // 00000000AE78: D2890052 00011103
	s_and_b32 s82, s82, 0xffffff                               // 00000000AE80: 8652FF52 00FFFFFF
	s_cmp_lt_u32 s82, s66                                      // 00000000AE88: BF0A4252
	s_cselect_b32 s20, s36, s60                                // 00000000AE8C: 85143C24
	v_readlane_b32 s82, v3, 9                                  // 00000000AE90: D2890052 00011303
	s_and_b32 s82, s82, 0xffffff                               // 00000000AE98: 8652FF52 00FFFFFF
	s_cmp_lt_u32 s82, s66                                      // 00000000AEA0: BF0A4252
	s_cselect_b32 s21, s36, s60                                // 00000000AEA4: 85153C24
	s_mov_b64 exec, s[20:21]                                   // 00000000AEA8: BEFE0114
	global_atomic_add_f32 v6, v96, s[8:9]                      // 00000000AEAC: DD348000 00086006
	global_atomic_add_f32 v6, v100, s[8:9] offset:256          // 00000000AEB4: DD348100 00086406
	s_mov_b64 exec, s[36:37]                                   // 00000000AEBC: BEFE0124
	v_mov_b32_e32 v6, v67                                      // 00000000AEC0: 7E0C0343
	s_mov_b64 s[60:61], 0                                      // 00000000AEC4: BEBC0180
	v_readlane_b32 s82, v3, 10                                 // 00000000AEC8: D2890052 00011503
	s_and_b32 s82, s82, 0xffffff                               // 00000000AED0: 8652FF52 00FFFFFF
	s_cmp_lt_u32 s82, s66                                      // 00000000AED8: BF0A4252
	s_cselect_b32 s20, s36, s60                                // 00000000AEDC: 85143C24
	v_readlane_b32 s82, v3, 11                                 // 00000000AEE0: D2890052 00011703
	s_and_b32 s82, s82, 0xffffff                               // 00000000AEE8: 8652FF52 00FFFFFF
	s_cmp_lt_u32 s82, s66                                      // 00000000AEF0: BF0A4252
	s_cselect_b32 s21, s36, s60                                // 00000000AEF4: 85153C24
	s_mov_b64 exec, s[20:21]                                   // 00000000AEF8: BEFE0114
	global_atomic_add_f32 v6, v97, s[8:9]                      // 00000000AEFC: DD348000 00086106
	global_atomic_add_f32 v6, v101, s[8:9] offset:256          // 00000000AF04: DD348100 00086506
	s_mov_b64 exec, s[36:37]                                   // 00000000AF0C: BEFE0124
	v_mov_b32_e32 v6, v68                                      // 00000000AF10: 7E0C0344
	s_mov_b64 s[60:61], 0                                      // 00000000AF14: BEBC0180
	v_readlane_b32 s82, v3, 12                                 // 00000000AF18: D2890052 00011903
	s_and_b32 s82, s82, 0xffffff                               // 00000000AF20: 8652FF52 00FFFFFF
	s_cmp_lt_u32 s82, s66                                      // 00000000AF28: BF0A4252
	s_cselect_b32 s20, s36, s60                                // 00000000AF2C: 85143C24
	v_readlane_b32 s82, v3, 13                                 // 00000000AF30: D2890052 00011B03
	s_and_b32 s82, s82, 0xffffff                               // 00000000AF38: 8652FF52 00FFFFFF
	s_cmp_lt_u32 s82, s66                                      // 00000000AF40: BF0A4252
	s_cselect_b32 s21, s36, s60                                // 00000000AF44: 85153C24
	s_mov_b64 exec, s[20:21]                                   // 00000000AF48: BEFE0114
	global_atomic_add_f32 v6, v104, s[8:9]                     // 00000000AF4C: DD348000 00086806
	global_atomic_add_f32 v6, v108, s[8:9] offset:256          // 00000000AF54: DD348100 00086C06
	s_mov_b64 exec, s[36:37]                                   // 00000000AF5C: BEFE0124
	v_mov_b32_e32 v6, v69                                      // 00000000AF60: 7E0C0345
	s_mov_b64 s[60:61], 0                                      // 00000000AF64: BEBC0180
	v_readlane_b32 s82, v3, 14                                 // 00000000AF68: D2890052 00011D03
	s_and_b32 s82, s82, 0xffffff                               // 00000000AF70: 8652FF52 00FFFFFF
	s_cmp_lt_u32 s82, s66                                      // 00000000AF78: BF0A4252
	s_cselect_b32 s20, s36, s60                                // 00000000AF7C: 85143C24
	v_readlane_b32 s82, v3, 15                                 // 00000000AF80: D2890052 00011F03
	s_and_b32 s82, s82, 0xffffff                               // 00000000AF88: 8652FF52 00FFFFFF
	s_cmp_lt_u32 s82, s66                                      // 00000000AF90: BF0A4252
	s_cselect_b32 s21, s36, s60                                // 00000000AF94: 85153C24
	s_mov_b64 exec, s[20:21]                                   // 00000000AF98: BEFE0114
	global_atomic_add_f32 v6, v105, s[8:9]                     // 00000000AF9C: DD348000 00086906
	global_atomic_add_f32 v6, v109, s[8:9] offset:256          // 00000000AFA4: DD348100 00086D06
	s_mov_b64 exec, s[36:37]                                   // 00000000AFAC: BEFE0124
	v_mov_b32_e32 v6, v70                                      // 00000000AFB0: 7E0C0346
	s_mov_b64 s[60:61], 0                                      // 00000000AFB4: BEBC0180
	v_readlane_b32 s82, v3, 16                                 // 00000000AFB8: D2890052 00012103
	s_and_b32 s82, s82, 0xffffff                               // 00000000AFC0: 8652FF52 00FFFFFF
	s_cmp_lt_u32 s82, s66                                      // 00000000AFC8: BF0A4252
	s_cselect_b32 s20, s36, s60                                // 00000000AFCC: 85143C24
	v_readlane_b32 s82, v3, 17                                 // 00000000AFD0: D2890052 00012303
	s_and_b32 s82, s82, 0xffffff                               // 00000000AFD8: 8652FF52 00FFFFFF
	s_cmp_lt_u32 s82, s66                                      // 00000000AFE0: BF0A4252
	s_cselect_b32 s21, s36, s60                                // 00000000AFE4: 85153C24
	s_mov_b64 exec, s[20:21]                                   // 00000000AFE8: BEFE0114
	global_atomic_add_f32 v6, v112, s[8:9]                     // 00000000AFEC: DD348000 00087006
	global_atomic_add_f32 v6, v116, s[8:9] offset:256          // 00000000AFF4: DD348100 00087406
	s_mov_b64 exec, s[36:37]                                   // 00000000AFFC: BEFE0124
	v_mov_b32_e32 v6, v71                                      // 00000000B000: 7E0C0347
	s_mov_b64 s[60:61], 0                                      // 00000000B004: BEBC0180
	v_readlane_b32 s82, v3, 18                                 // 00000000B008: D2890052 00012503
	s_and_b32 s82, s82, 0xffffff                               // 00000000B010: 8652FF52 00FFFFFF
	s_cmp_lt_u32 s82, s66                                      // 00000000B018: BF0A4252
	s_cselect_b32 s20, s36, s60                                // 00000000B01C: 85143C24
	v_readlane_b32 s82, v3, 19                                 // 00000000B020: D2890052 00012703
	s_and_b32 s82, s82, 0xffffff                               // 00000000B028: 8652FF52 00FFFFFF
	s_cmp_lt_u32 s82, s66                                      // 00000000B030: BF0A4252
	s_cselect_b32 s21, s36, s60                                // 00000000B034: 85153C24
	s_mov_b64 exec, s[20:21]                                   // 00000000B038: BEFE0114
	global_atomic_add_f32 v6, v113, s[8:9]                     // 00000000B03C: DD348000 00087106
	global_atomic_add_f32 v6, v117, s[8:9] offset:256          // 00000000B044: DD348100 00087506
	s_mov_b64 exec, s[36:37]                                   // 00000000B04C: BEFE0124
	v_mov_b32_e32 v6, v72                                      // 00000000B050: 7E0C0348
	s_mov_b64 s[60:61], 0                                      // 00000000B054: BEBC0180
	v_readlane_b32 s82, v3, 20                                 // 00000000B058: D2890052 00012903
	s_and_b32 s82, s82, 0xffffff                               // 00000000B060: 8652FF52 00FFFFFF
	s_cmp_lt_u32 s82, s66                                      // 00000000B068: BF0A4252
	s_cselect_b32 s20, s36, s60                                // 00000000B06C: 85143C24
	v_readlane_b32 s82, v3, 21                                 // 00000000B070: D2890052 00012B03
	s_and_b32 s82, s82, 0xffffff                               // 00000000B078: 8652FF52 00FFFFFF
	s_cmp_lt_u32 s82, s66                                      // 00000000B080: BF0A4252
	s_cselect_b32 s21, s36, s60                                // 00000000B084: 85153C24
	s_mov_b64 exec, s[20:21]                                   // 00000000B088: BEFE0114
	global_atomic_add_f32 v6, v120, s[8:9]                     // 00000000B08C: DD348000 00087806
	global_atomic_add_f32 v6, v124, s[8:9] offset:256          // 00000000B094: DD348100 00087C06
	s_mov_b64 exec, s[36:37]                                   // 00000000B09C: BEFE0124
	v_mov_b32_e32 v6, v73                                      // 00000000B0A0: 7E0C0349
	s_mov_b64 s[60:61], 0                                      // 00000000B0A4: BEBC0180
	v_readlane_b32 s82, v3, 22                                 // 00000000B0A8: D2890052 00012D03
	s_and_b32 s82, s82, 0xffffff                               // 00000000B0B0: 8652FF52 00FFFFFF
	s_cmp_lt_u32 s82, s66                                      // 00000000B0B8: BF0A4252
	s_cselect_b32 s20, s36, s60                                // 00000000B0BC: 85143C24
	v_readlane_b32 s82, v3, 23                                 // 00000000B0C0: D2890052 00012F03
	s_and_b32 s82, s82, 0xffffff                               // 00000000B0C8: 8652FF52 00FFFFFF
	s_cmp_lt_u32 s82, s66                                      // 00000000B0D0: BF0A4252
	s_cselect_b32 s21, s36, s60                                // 00000000B0D4: 85153C24
	s_mov_b64 exec, s[20:21]                                   // 00000000B0D8: BEFE0114
	global_atomic_add_f32 v6, v121, s[8:9]                     // 00000000B0DC: DD348000 00087906
	global_atomic_add_f32 v6, v125, s[8:9] offset:256          // 00000000B0E4: DD348100 00087D06
	s_mov_b64 exec, s[36:37]                                   // 00000000B0EC: BEFE0124
	v_mov_b32_e32 v6, v74                                      // 00000000B0F0: 7E0C034A
	s_mov_b64 s[60:61], 0                                      // 00000000B0F4: BEBC0180
	v_readlane_b32 s82, v3, 24                                 // 00000000B0F8: D2890052 00013103
	s_and_b32 s82, s82, 0xffffff                               // 00000000B100: 8652FF52 00FFFFFF
	s_cmp_lt_u32 s82, s66                                      // 00000000B108: BF0A4252
	s_cselect_b32 s20, s36, s60                                // 00000000B10C: 85143C24
	v_readlane_b32 s82, v3, 25                                 // 00000000B110: D2890052 00013303
	s_and_b32 s82, s82, 0xffffff                               // 00000000B118: 8652FF52 00FFFFFF
	s_cmp_lt_u32 s82, s66                                      // 00000000B120: BF0A4252
	s_cselect_b32 s21, s36, s60                                // 00000000B124: 85153C24
	s_mov_b64 exec, s[20:21]                                   // 00000000B128: BEFE0114
	global_atomic_add_f32 v6, v128, s[8:9]                     // 00000000B12C: DD348000 00088006
	global_atomic_add_f32 v6, v132, s[8:9] offset:256          // 00000000B134: DD348100 00088406
	s_mov_b64 exec, s[36:37]                                   // 00000000B13C: BEFE0124
	v_mov_b32_e32 v6, v75                                      // 00000000B140: 7E0C034B
	s_mov_b64 s[60:61], 0                                      // 00000000B144: BEBC0180
	v_readlane_b32 s82, v3, 26                                 // 00000000B148: D2890052 00013503
	s_and_b32 s82, s82, 0xffffff                               // 00000000B150: 8652FF52 00FFFFFF
	s_cmp_lt_u32 s82, s66                                      // 00000000B158: BF0A4252
	s_cselect_b32 s20, s36, s60                                // 00000000B15C: 85143C24
	v_readlane_b32 s82, v3, 27                                 // 00000000B160: D2890052 00013703
	s_and_b32 s82, s82, 0xffffff                               // 00000000B168: 8652FF52 00FFFFFF
	s_cmp_lt_u32 s82, s66                                      // 00000000B170: BF0A4252
	s_cselect_b32 s21, s36, s60                                // 00000000B174: 85153C24
	s_mov_b64 exec, s[20:21]                                   // 00000000B178: BEFE0114
	global_atomic_add_f32 v6, v129, s[8:9]                     // 00000000B17C: DD348000 00088106
	global_atomic_add_f32 v6, v133, s[8:9] offset:256          // 00000000B184: DD348100 00088506
	s_mov_b64 exec, s[36:37]                                   // 00000000B18C: BEFE0124
	v_mov_b32_e32 v6, v76                                      // 00000000B190: 7E0C034C
	s_mov_b64 s[60:61], 0                                      // 00000000B194: BEBC0180
	v_readlane_b32 s82, v3, 28                                 // 00000000B198: D2890052 00013903
	s_and_b32 s82, s82, 0xffffff                               // 00000000B1A0: 8652FF52 00FFFFFF
	s_cmp_lt_u32 s82, s66                                      // 00000000B1A8: BF0A4252
	s_cselect_b32 s20, s36, s60                                // 00000000B1AC: 85143C24
	v_readlane_b32 s82, v3, 29                                 // 00000000B1B0: D2890052 00013B03
	s_and_b32 s82, s82, 0xffffff                               // 00000000B1B8: 8652FF52 00FFFFFF
	s_cmp_lt_u32 s82, s66                                      // 00000000B1C0: BF0A4252
	s_cselect_b32 s21, s36, s60                                // 00000000B1C4: 85153C24
	s_mov_b64 exec, s[20:21]                                   // 00000000B1C8: BEFE0114
	global_atomic_add_f32 v6, v136, s[8:9]                     // 00000000B1CC: DD348000 00088806
	global_atomic_add_f32 v6, v140, s[8:9] offset:256          // 00000000B1D4: DD348100 00088C06
	s_mov_b64 exec, s[36:37]                                   // 00000000B1DC: BEFE0124
	v_mov_b32_e32 v6, v77                                      // 00000000B1E0: 7E0C034D
	s_mov_b64 s[60:61], 0                                      // 00000000B1E4: BEBC0180
	v_readlane_b32 s82, v3, 30                                 // 00000000B1E8: D2890052 00013D03
	s_and_b32 s82, s82, 0xffffff                               // 00000000B1F0: 8652FF52 00FFFFFF
	s_cmp_lt_u32 s82, s66                                      // 00000000B1F8: BF0A4252
	s_cselect_b32 s20, s36, s60                                // 00000000B1FC: 85143C24
	v_readlane_b32 s82, v3, 31                                 // 00000000B200: D2890052 00013F03
	s_and_b32 s82, s82, 0xffffff                               // 00000000B208: 8652FF52 00FFFFFF
	s_cmp_lt_u32 s82, s66                                      // 00000000B210: BF0A4252
	s_cselect_b32 s21, s36, s60                                // 00000000B214: 85153C24
	s_mov_b64 exec, s[20:21]                                   // 00000000B218: BEFE0114
	global_atomic_add_f32 v6, v137, s[8:9]                     // 00000000B21C: DD348000 00088906
	global_atomic_add_f32 v6, v141, s[8:9] offset:256          // 00000000B224: DD348100 00088D06
	s_mov_b64 exec, s[36:37]                                   // 00000000B22C: BEFE0124
	ds_write_b64 v20, v[82:83]                                 // 00000000B230: D89A0000 00005214
	ds_write_b64 v20, v[86:87] offset:4352                     // 00000000B238: D89A1100 00005614
	ds_write_b64 v20, v[90:91] offset:8704                     // 00000000B240: D89A2200 00005A14
	ds_write_b64 v20, v[94:95] offset:13056                    // 00000000B248: D89A3300 00005E14
	ds_write_b64 v20, v[98:99] offset:17408                    // 00000000B250: D89A4400 00006214
	ds_write_b64 v20, v[102:103] offset:21760                  // 00000000B258: D89A5500 00006614
	ds_write_b64 v20, v[106:107] offset:26112                  // 00000000B260: D89A6600 00006A14
	ds_write_b64 v20, v[110:111] offset:30464                  // 00000000B268: D89A7700 00006E14
	ds_write_b64 v20, v[114:115] offset:2176                   // 00000000B270: D89A0880 00007214
	ds_write_b64 v20, v[118:119] offset:6528                   // 00000000B278: D89A1980 00007614
	ds_write_b64 v20, v[122:123] offset:10880                  // 00000000B280: D89A2A80 00007A14
	ds_write_b64 v20, v[126:127] offset:15232                  // 00000000B288: D89A3B80 00007E14
	ds_write_b64 v20, v[130:131] offset:19584                  // 00000000B290: D89A4C80 00008214
	ds_write_b64 v20, v[134:135] offset:23936                  // 00000000B298: D89A5D80 00008614
	ds_write_b64 v20, v[138:139] offset:28288                  // 00000000B2A0: D89A6E80 00008A14
	ds_write_b64 v20, v[142:143] offset:32640                  // 00000000B2A8: D89A7F80 00008E14
	s_waitcnt lgkmcnt(0)                                       // 00000000B2B0: BF8CC07F
	s_barrier                                                  // 00000000B2B4: BF8A0000
	ds_read_b32 v82, v21                                       // 00000000B2B8: D86C0000 52000015
	ds_read_b32 v83, v21 offset:64                             // 00000000B2C0: D86C0040 53000015
	ds_read_b32 v86, v21 offset:2176                           // 00000000B2C8: D86C0880 56000015
	ds_read_b32 v87, v21 offset:2240                           // 00000000B2D0: D86C08C0 57000015
	ds_read_b32 v90, v21 offset:4352                           // 00000000B2D8: D86C1100 5A000015
	ds_read_b32 v91, v21 offset:4416                           // 00000000B2E0: D86C1140 5B000015
	ds_read_b32 v94, v21 offset:6528                           // 00000000B2E8: D86C1980 5E000015
	ds_read_b32 v95, v21 offset:6592                           // 00000000B2F0: D86C19C0 5F000015
	ds_read_b32 v98, v21 offset:8704                           // 00000000B2F8: D86C2200 62000015
	ds_read_b32 v99, v21 offset:8768                           // 00000000B300: D86C2240 63000015
	ds_read_b32 v102, v21 offset:10880                         // 00000000B308: D86C2A80 66000015
	ds_read_b32 v103, v21 offset:10944                         // 00000000B310: D86C2AC0 67000015
	ds_read_b32 v106, v21 offset:13056                         // 00000000B318: D86C3300 6A000015
	ds_read_b32 v107, v21 offset:13120                         // 00000000B320: D86C3340 6B000015
	ds_read_b32 v110, v21 offset:15232                         // 00000000B328: D86C3B80 6E000015
	ds_read_b32 v111, v21 offset:15296                         // 00000000B330: D86C3BC0 6F000015
	ds_read_b32 v114, v21 offset:17408                         // 00000000B338: D86C4400 72000015
	ds_read_b32 v115, v21 offset:17472                         // 00000000B340: D86C4440 73000015
	ds_read_b32 v118, v21 offset:19584                         // 00000000B348: D86C4C80 76000015
	ds_read_b32 v119, v21 offset:19648                         // 00000000B350: D86C4CC0 77000015
	ds_read_b32 v122, v21 offset:21760                         // 00000000B358: D86C5500 7A000015
	ds_read_b32 v123, v21 offset:21824                         // 00000000B360: D86C5540 7B000015
	ds_read_b32 v126, v21 offset:23936                         // 00000000B368: D86C5D80 7E000015
	ds_read_b32 v127, v21 offset:24000                         // 00000000B370: D86C5DC0 7F000015
	ds_read_b32 v130, v21 offset:26112                         // 00000000B378: D86C6600 82000015
	ds_read_b32 v131, v21 offset:26176                         // 00000000B380: D86C6640 83000015
	ds_read_b32 v134, v21 offset:28288                         // 00000000B388: D86C6E80 86000015
	ds_read_b32 v135, v21 offset:28352                         // 00000000B390: D86C6EC0 87000015
	ds_read_b32 v138, v21 offset:30464                         // 00000000B398: D86C7700 8A000015
	ds_read_b32 v139, v21 offset:30528                         // 00000000B3A0: D86C7740 8B000015
	ds_read_b32 v142, v21 offset:32640                         // 00000000B3A8: D86C7F80 8E000015
	ds_read_b32 v143, v21 offset:32704                         // 00000000B3B0: D86C7FC0 8F000015
	s_waitcnt lgkmcnt(0)                                       // 00000000B3B8: BF8CC07F
	v_mov_b32_e32 v7, 0                                        // 00000000B3BC: 7E0E0280
	s_mov_b64 exec, s[36:37]                                   // 00000000B3C0: BEFE0124
	v_mov_b32_e32 v6, v62                                      // 00000000B3C4: 7E0C033E
	s_mov_b64 s[60:61], 0                                      // 00000000B3C8: BEBC0180
	v_readlane_b32 s82, v3, 0                                  // 00000000B3CC: D2890052 00010103
	s_and_b32 s82, s82, 0xffffff                               // 00000000B3D4: 8652FF52 00FFFFFF
	s_cmp_lt_u32 s82, s66                                      // 00000000B3DC: BF0A4252
	s_cselect_b32 s20, s36, s60                                // 00000000B3E0: 85143C24
	v_readlane_b32 s82, v3, 1                                  // 00000000B3E4: D2890052 00010303
	s_and_b32 s82, s82, 0xffffff                               // 00000000B3EC: 8652FF52 00FFFFFF
	s_cmp_lt_u32 s82, s66                                      // 00000000B3F4: BF0A4252
	s_cselect_b32 s21, s36, s60                                // 00000000B3F8: 85153C24
	s_mov_b64 exec, s[20:21]                                   // 00000000B3FC: BEFE0114
	global_atomic_add_f32 v6, v82, s[8:9] offset:8             // 00000000B400: DD348008 00085206
	global_atomic_add_f32 v6, v86, s[8:9] offset:264           // 00000000B408: DD348108 00085606
	s_mov_b64 exec, s[36:37]                                   // 00000000B410: BEFE0124
	v_mov_b32_e32 v6, v63                                      // 00000000B414: 7E0C033F
	s_mov_b64 s[60:61], 0                                      // 00000000B418: BEBC0180
	v_readlane_b32 s82, v3, 2                                  // 00000000B41C: D2890052 00010503
	s_and_b32 s82, s82, 0xffffff                               // 00000000B424: 8652FF52 00FFFFFF
	s_cmp_lt_u32 s82, s66                                      // 00000000B42C: BF0A4252
	s_cselect_b32 s20, s36, s60                                // 00000000B430: 85143C24
	v_readlane_b32 s82, v3, 3                                  // 00000000B434: D2890052 00010703
	s_and_b32 s82, s82, 0xffffff                               // 00000000B43C: 8652FF52 00FFFFFF
	s_cmp_lt_u32 s82, s66                                      // 00000000B444: BF0A4252
	s_cselect_b32 s21, s36, s60                                // 00000000B448: 85153C24
	s_mov_b64 exec, s[20:21]                                   // 00000000B44C: BEFE0114
	global_atomic_add_f32 v6, v83, s[8:9] offset:8             // 00000000B450: DD348008 00085306
	global_atomic_add_f32 v6, v87, s[8:9] offset:264           // 00000000B458: DD348108 00085706
	s_mov_b64 exec, s[36:37]                                   // 00000000B460: BEFE0124
	v_mov_b32_e32 v6, v64                                      // 00000000B464: 7E0C0340
	s_mov_b64 s[60:61], 0                                      // 00000000B468: BEBC0180
	v_readlane_b32 s82, v3, 4                                  // 00000000B46C: D2890052 00010903
	s_and_b32 s82, s82, 0xffffff                               // 00000000B474: 8652FF52 00FFFFFF
	s_cmp_lt_u32 s82, s66                                      // 00000000B47C: BF0A4252
	s_cselect_b32 s20, s36, s60                                // 00000000B480: 85143C24
	v_readlane_b32 s82, v3, 5                                  // 00000000B484: D2890052 00010B03
	s_and_b32 s82, s82, 0xffffff                               // 00000000B48C: 8652FF52 00FFFFFF
	s_cmp_lt_u32 s82, s66                                      // 00000000B494: BF0A4252
	s_cselect_b32 s21, s36, s60                                // 00000000B498: 85153C24
	s_mov_b64 exec, s[20:21]                                   // 00000000B49C: BEFE0114
	global_atomic_add_f32 v6, v90, s[8:9] offset:8             // 00000000B4A0: DD348008 00085A06
	global_atomic_add_f32 v6, v94, s[8:9] offset:264           // 00000000B4A8: DD348108 00085E06
	s_mov_b64 exec, s[36:37]                                   // 00000000B4B0: BEFE0124
	v_mov_b32_e32 v6, v65                                      // 00000000B4B4: 7E0C0341
	s_mov_b64 s[60:61], 0                                      // 00000000B4B8: BEBC0180
	v_readlane_b32 s82, v3, 6                                  // 00000000B4BC: D2890052 00010D03
	s_and_b32 s82, s82, 0xffffff                               // 00000000B4C4: 8652FF52 00FFFFFF
	s_cmp_lt_u32 s82, s66                                      // 00000000B4CC: BF0A4252
	s_cselect_b32 s20, s36, s60                                // 00000000B4D0: 85143C24
	v_readlane_b32 s82, v3, 7                                  // 00000000B4D4: D2890052 00010F03
	s_and_b32 s82, s82, 0xffffff                               // 00000000B4DC: 8652FF52 00FFFFFF
	s_cmp_lt_u32 s82, s66                                      // 00000000B4E4: BF0A4252
	s_cselect_b32 s21, s36, s60                                // 00000000B4E8: 85153C24
	s_mov_b64 exec, s[20:21]                                   // 00000000B4EC: BEFE0114
	global_atomic_add_f32 v6, v91, s[8:9] offset:8             // 00000000B4F0: DD348008 00085B06
	global_atomic_add_f32 v6, v95, s[8:9] offset:264           // 00000000B4F8: DD348108 00085F06
	s_mov_b64 exec, s[36:37]                                   // 00000000B500: BEFE0124
	v_mov_b32_e32 v6, v66                                      // 00000000B504: 7E0C0342
	s_mov_b64 s[60:61], 0                                      // 00000000B508: BEBC0180
	v_readlane_b32 s82, v3, 8                                  // 00000000B50C: D2890052 00011103
	s_and_b32 s82, s82, 0xffffff                               // 00000000B514: 8652FF52 00FFFFFF
	s_cmp_lt_u32 s82, s66                                      // 00000000B51C: BF0A4252
	s_cselect_b32 s20, s36, s60                                // 00000000B520: 85143C24
	v_readlane_b32 s82, v3, 9                                  // 00000000B524: D2890052 00011303
	s_and_b32 s82, s82, 0xffffff                               // 00000000B52C: 8652FF52 00FFFFFF
	s_cmp_lt_u32 s82, s66                                      // 00000000B534: BF0A4252
	s_cselect_b32 s21, s36, s60                                // 00000000B538: 85153C24
	s_mov_b64 exec, s[20:21]                                   // 00000000B53C: BEFE0114
	global_atomic_add_f32 v6, v98, s[8:9] offset:8             // 00000000B540: DD348008 00086206
	global_atomic_add_f32 v6, v102, s[8:9] offset:264          // 00000000B548: DD348108 00086606
	s_mov_b64 exec, s[36:37]                                   // 00000000B550: BEFE0124
	v_mov_b32_e32 v6, v67                                      // 00000000B554: 7E0C0343
	s_mov_b64 s[60:61], 0                                      // 00000000B558: BEBC0180
	v_readlane_b32 s82, v3, 10                                 // 00000000B55C: D2890052 00011503
	s_and_b32 s82, s82, 0xffffff                               // 00000000B564: 8652FF52 00FFFFFF
	s_cmp_lt_u32 s82, s66                                      // 00000000B56C: BF0A4252
	s_cselect_b32 s20, s36, s60                                // 00000000B570: 85143C24
	v_readlane_b32 s82, v3, 11                                 // 00000000B574: D2890052 00011703
	s_and_b32 s82, s82, 0xffffff                               // 00000000B57C: 8652FF52 00FFFFFF
	s_cmp_lt_u32 s82, s66                                      // 00000000B584: BF0A4252
	s_cselect_b32 s21, s36, s60                                // 00000000B588: 85153C24
	s_mov_b64 exec, s[20:21]                                   // 00000000B58C: BEFE0114
	global_atomic_add_f32 v6, v99, s[8:9] offset:8             // 00000000B590: DD348008 00086306
	global_atomic_add_f32 v6, v103, s[8:9] offset:264          // 00000000B598: DD348108 00086706
	s_mov_b64 exec, s[36:37]                                   // 00000000B5A0: BEFE0124
	v_mov_b32_e32 v6, v68                                      // 00000000B5A4: 7E0C0344
	s_mov_b64 s[60:61], 0                                      // 00000000B5A8: BEBC0180
	v_readlane_b32 s82, v3, 12                                 // 00000000B5AC: D2890052 00011903
	s_and_b32 s82, s82, 0xffffff                               // 00000000B5B4: 8652FF52 00FFFFFF
	s_cmp_lt_u32 s82, s66                                      // 00000000B5BC: BF0A4252
	s_cselect_b32 s20, s36, s60                                // 00000000B5C0: 85143C24
	v_readlane_b32 s82, v3, 13                                 // 00000000B5C4: D2890052 00011B03
	s_and_b32 s82, s82, 0xffffff                               // 00000000B5CC: 8652FF52 00FFFFFF
	s_cmp_lt_u32 s82, s66                                      // 00000000B5D4: BF0A4252
	s_cselect_b32 s21, s36, s60                                // 00000000B5D8: 85153C24
	s_mov_b64 exec, s[20:21]                                   // 00000000B5DC: BEFE0114
	global_atomic_add_f32 v6, v106, s[8:9] offset:8            // 00000000B5E0: DD348008 00086A06
	global_atomic_add_f32 v6, v110, s[8:9] offset:264          // 00000000B5E8: DD348108 00086E06
	s_mov_b64 exec, s[36:37]                                   // 00000000B5F0: BEFE0124
	v_mov_b32_e32 v6, v69                                      // 00000000B5F4: 7E0C0345
	s_mov_b64 s[60:61], 0                                      // 00000000B5F8: BEBC0180
	v_readlane_b32 s82, v3, 14                                 // 00000000B5FC: D2890052 00011D03
	s_and_b32 s82, s82, 0xffffff                               // 00000000B604: 8652FF52 00FFFFFF
	s_cmp_lt_u32 s82, s66                                      // 00000000B60C: BF0A4252
	s_cselect_b32 s20, s36, s60                                // 00000000B610: 85143C24
	v_readlane_b32 s82, v3, 15                                 // 00000000B614: D2890052 00011F03
	s_and_b32 s82, s82, 0xffffff                               // 00000000B61C: 8652FF52 00FFFFFF
	s_cmp_lt_u32 s82, s66                                      // 00000000B624: BF0A4252
	s_cselect_b32 s21, s36, s60                                // 00000000B628: 85153C24
	s_mov_b64 exec, s[20:21]                                   // 00000000B62C: BEFE0114
	global_atomic_add_f32 v6, v107, s[8:9] offset:8            // 00000000B630: DD348008 00086B06
	global_atomic_add_f32 v6, v111, s[8:9] offset:264          // 00000000B638: DD348108 00086F06
	s_mov_b64 exec, s[36:37]                                   // 00000000B640: BEFE0124
	v_mov_b32_e32 v6, v70                                      // 00000000B644: 7E0C0346
	s_mov_b64 s[60:61], 0                                      // 00000000B648: BEBC0180
	v_readlane_b32 s82, v3, 16                                 // 00000000B64C: D2890052 00012103
	s_and_b32 s82, s82, 0xffffff                               // 00000000B654: 8652FF52 00FFFFFF
	s_cmp_lt_u32 s82, s66                                      // 00000000B65C: BF0A4252
	s_cselect_b32 s20, s36, s60                                // 00000000B660: 85143C24
	v_readlane_b32 s82, v3, 17                                 // 00000000B664: D2890052 00012303
	s_and_b32 s82, s82, 0xffffff                               // 00000000B66C: 8652FF52 00FFFFFF
	s_cmp_lt_u32 s82, s66                                      // 00000000B674: BF0A4252
	s_cselect_b32 s21, s36, s60                                // 00000000B678: 85153C24
	s_mov_b64 exec, s[20:21]                                   // 00000000B67C: BEFE0114
	global_atomic_add_f32 v6, v114, s[8:9] offset:8            // 00000000B680: DD348008 00087206
	global_atomic_add_f32 v6, v118, s[8:9] offset:264          // 00000000B688: DD348108 00087606
	s_mov_b64 exec, s[36:37]                                   // 00000000B690: BEFE0124
	v_mov_b32_e32 v6, v71                                      // 00000000B694: 7E0C0347
	s_mov_b64 s[60:61], 0                                      // 00000000B698: BEBC0180
	v_readlane_b32 s82, v3, 18                                 // 00000000B69C: D2890052 00012503
	s_and_b32 s82, s82, 0xffffff                               // 00000000B6A4: 8652FF52 00FFFFFF
	s_cmp_lt_u32 s82, s66                                      // 00000000B6AC: BF0A4252
	s_cselect_b32 s20, s36, s60                                // 00000000B6B0: 85143C24
	v_readlane_b32 s82, v3, 19                                 // 00000000B6B4: D2890052 00012703
	s_and_b32 s82, s82, 0xffffff                               // 00000000B6BC: 8652FF52 00FFFFFF
	s_cmp_lt_u32 s82, s66                                      // 00000000B6C4: BF0A4252
	s_cselect_b32 s21, s36, s60                                // 00000000B6C8: 85153C24
	s_mov_b64 exec, s[20:21]                                   // 00000000B6CC: BEFE0114
	global_atomic_add_f32 v6, v115, s[8:9] offset:8            // 00000000B6D0: DD348008 00087306
	global_atomic_add_f32 v6, v119, s[8:9] offset:264          // 00000000B6D8: DD348108 00087706
	s_mov_b64 exec, s[36:37]                                   // 00000000B6E0: BEFE0124
	v_mov_b32_e32 v6, v72                                      // 00000000B6E4: 7E0C0348
	s_mov_b64 s[60:61], 0                                      // 00000000B6E8: BEBC0180
	v_readlane_b32 s82, v3, 20                                 // 00000000B6EC: D2890052 00012903
	s_and_b32 s82, s82, 0xffffff                               // 00000000B6F4: 8652FF52 00FFFFFF
	s_cmp_lt_u32 s82, s66                                      // 00000000B6FC: BF0A4252
	s_cselect_b32 s20, s36, s60                                // 00000000B700: 85143C24
	v_readlane_b32 s82, v3, 21                                 // 00000000B704: D2890052 00012B03
	s_and_b32 s82, s82, 0xffffff                               // 00000000B70C: 8652FF52 00FFFFFF
	s_cmp_lt_u32 s82, s66                                      // 00000000B714: BF0A4252
	s_cselect_b32 s21, s36, s60                                // 00000000B718: 85153C24
	s_mov_b64 exec, s[20:21]                                   // 00000000B71C: BEFE0114
	global_atomic_add_f32 v6, v122, s[8:9] offset:8            // 00000000B720: DD348008 00087A06
	global_atomic_add_f32 v6, v126, s[8:9] offset:264          // 00000000B728: DD348108 00087E06
	s_mov_b64 exec, s[36:37]                                   // 00000000B730: BEFE0124
	v_mov_b32_e32 v6, v73                                      // 00000000B734: 7E0C0349
	s_mov_b64 s[60:61], 0                                      // 00000000B738: BEBC0180
	v_readlane_b32 s82, v3, 22                                 // 00000000B73C: D2890052 00012D03
	s_and_b32 s82, s82, 0xffffff                               // 00000000B744: 8652FF52 00FFFFFF
	s_cmp_lt_u32 s82, s66                                      // 00000000B74C: BF0A4252
	s_cselect_b32 s20, s36, s60                                // 00000000B750: 85143C24
	v_readlane_b32 s82, v3, 23                                 // 00000000B754: D2890052 00012F03
	s_and_b32 s82, s82, 0xffffff                               // 00000000B75C: 8652FF52 00FFFFFF
	s_cmp_lt_u32 s82, s66                                      // 00000000B764: BF0A4252
	s_cselect_b32 s21, s36, s60                                // 00000000B768: 85153C24
	s_mov_b64 exec, s[20:21]                                   // 00000000B76C: BEFE0114
	global_atomic_add_f32 v6, v123, s[8:9] offset:8            // 00000000B770: DD348008 00087B06
	global_atomic_add_f32 v6, v127, s[8:9] offset:264          // 00000000B778: DD348108 00087F06
	s_mov_b64 exec, s[36:37]                                   // 00000000B780: BEFE0124
	v_mov_b32_e32 v6, v74                                      // 00000000B784: 7E0C034A
	s_mov_b64 s[60:61], 0                                      // 00000000B788: BEBC0180
	v_readlane_b32 s82, v3, 24                                 // 00000000B78C: D2890052 00013103
	s_and_b32 s82, s82, 0xffffff                               // 00000000B794: 8652FF52 00FFFFFF
	s_cmp_lt_u32 s82, s66                                      // 00000000B79C: BF0A4252
	s_cselect_b32 s20, s36, s60                                // 00000000B7A0: 85143C24
	v_readlane_b32 s82, v3, 25                                 // 00000000B7A4: D2890052 00013303
	s_and_b32 s82, s82, 0xffffff                               // 00000000B7AC: 8652FF52 00FFFFFF
	s_cmp_lt_u32 s82, s66                                      // 00000000B7B4: BF0A4252
	s_cselect_b32 s21, s36, s60                                // 00000000B7B8: 85153C24
	s_mov_b64 exec, s[20:21]                                   // 00000000B7BC: BEFE0114
	global_atomic_add_f32 v6, v130, s[8:9] offset:8            // 00000000B7C0: DD348008 00088206
	global_atomic_add_f32 v6, v134, s[8:9] offset:264          // 00000000B7C8: DD348108 00088606
	s_mov_b64 exec, s[36:37]                                   // 00000000B7D0: BEFE0124
	v_mov_b32_e32 v6, v75                                      // 00000000B7D4: 7E0C034B
	s_mov_b64 s[60:61], 0                                      // 00000000B7D8: BEBC0180
	v_readlane_b32 s82, v3, 26                                 // 00000000B7DC: D2890052 00013503
	s_and_b32 s82, s82, 0xffffff                               // 00000000B7E4: 8652FF52 00FFFFFF
	s_cmp_lt_u32 s82, s66                                      // 00000000B7EC: BF0A4252
	s_cselect_b32 s20, s36, s60                                // 00000000B7F0: 85143C24
	v_readlane_b32 s82, v3, 27                                 // 00000000B7F4: D2890052 00013703
	s_and_b32 s82, s82, 0xffffff                               // 00000000B7FC: 8652FF52 00FFFFFF
	s_cmp_lt_u32 s82, s66                                      // 00000000B804: BF0A4252
	s_cselect_b32 s21, s36, s60                                // 00000000B808: 85153C24
	s_mov_b64 exec, s[20:21]                                   // 00000000B80C: BEFE0114
	global_atomic_add_f32 v6, v131, s[8:9] offset:8            // 00000000B810: DD348008 00088306
	global_atomic_add_f32 v6, v135, s[8:9] offset:264          // 00000000B818: DD348108 00088706
	s_mov_b64 exec, s[36:37]                                   // 00000000B820: BEFE0124
	v_mov_b32_e32 v6, v76                                      // 00000000B824: 7E0C034C
	s_mov_b64 s[60:61], 0                                      // 00000000B828: BEBC0180
	v_readlane_b32 s82, v3, 28                                 // 00000000B82C: D2890052 00013903
	s_and_b32 s82, s82, 0xffffff                               // 00000000B834: 8652FF52 00FFFFFF
	s_cmp_lt_u32 s82, s66                                      // 00000000B83C: BF0A4252
	s_cselect_b32 s20, s36, s60                                // 00000000B840: 85143C24
	v_readlane_b32 s82, v3, 29                                 // 00000000B844: D2890052 00013B03
	s_and_b32 s82, s82, 0xffffff                               // 00000000B84C: 8652FF52 00FFFFFF
	s_cmp_lt_u32 s82, s66                                      // 00000000B854: BF0A4252
	s_cselect_b32 s21, s36, s60                                // 00000000B858: 85153C24
	s_mov_b64 exec, s[20:21]                                   // 00000000B85C: BEFE0114
	global_atomic_add_f32 v6, v138, s[8:9] offset:8            // 00000000B860: DD348008 00088A06
	global_atomic_add_f32 v6, v142, s[8:9] offset:264          // 00000000B868: DD348108 00088E06
	s_mov_b64 exec, s[36:37]                                   // 00000000B870: BEFE0124
	v_mov_b32_e32 v6, v77                                      // 00000000B874: 7E0C034D
	s_mov_b64 s[60:61], 0                                      // 00000000B878: BEBC0180
	v_readlane_b32 s82, v3, 30                                 // 00000000B87C: D2890052 00013D03
	s_and_b32 s82, s82, 0xffffff                               // 00000000B884: 8652FF52 00FFFFFF
	s_cmp_lt_u32 s82, s66                                      // 00000000B88C: BF0A4252
	s_cselect_b32 s20, s36, s60                                // 00000000B890: 85143C24
	v_readlane_b32 s82, v3, 31                                 // 00000000B894: D2890052 00013F03
	s_and_b32 s82, s82, 0xffffff                               // 00000000B89C: 8652FF52 00FFFFFF
	s_cmp_lt_u32 s82, s66                                      // 00000000B8A4: BF0A4252
	s_cselect_b32 s21, s36, s60                                // 00000000B8A8: 85153C24
	s_mov_b64 exec, s[20:21]                                   // 00000000B8AC: BEFE0114
	global_atomic_add_f32 v6, v139, s[8:9] offset:8            // 00000000B8B0: DD348008 00088B06
	global_atomic_add_f32 v6, v143, s[8:9] offset:264          // 00000000B8B8: DD348108 00088F06
	s_mov_b64 exec, s[36:37]                                   // 00000000B8C0: BEFE0124
	ds_write_b64 v20, v[144:145]                               // 00000000B8C4: D89A0000 00009014
	ds_write_b64 v20, v[148:149] offset:4352                   // 00000000B8CC: D89A1100 00009414
	ds_write_b64 v20, v[152:153] offset:8704                   // 00000000B8D4: D89A2200 00009814
	ds_write_b64 v20, v[156:157] offset:13056                  // 00000000B8DC: D89A3300 00009C14
	ds_write_b64 v20, v[160:161] offset:17408                  // 00000000B8E4: D89A4400 0000A014
	ds_write_b64 v20, v[164:165] offset:21760                  // 00000000B8EC: D89A5500 0000A414
	ds_write_b64 v20, v[168:169] offset:26112                  // 00000000B8F4: D89A6600 0000A814
	ds_write_b64 v20, v[172:173] offset:30464                  // 00000000B8FC: D89A7700 0000AC14
	ds_write_b64 v20, v[176:177] offset:2176                   // 00000000B904: D89A0880 0000B014
	ds_write_b64 v20, v[180:181] offset:6528                   // 00000000B90C: D89A1980 0000B414
	ds_write_b64 v20, v[184:185] offset:10880                  // 00000000B914: D89A2A80 0000B814
	ds_write_b64 v20, v[188:189] offset:15232                  // 00000000B91C: D89A3B80 0000BC14
	ds_write_b64 v20, v[192:193] offset:19584                  // 00000000B924: D89A4C80 0000C014
	ds_write_b64 v20, v[196:197] offset:23936                  // 00000000B92C: D89A5D80 0000C414
	ds_write_b64 v20, v[200:201] offset:28288                  // 00000000B934: D89A6E80 0000C814
	ds_write_b64 v20, v[204:205] offset:32640                  // 00000000B93C: D89A7F80 0000CC14
	s_waitcnt lgkmcnt(0)                                       // 00000000B944: BF8CC07F
	s_barrier                                                  // 00000000B948: BF8A0000
	ds_read_b32 v144, v21                                      // 00000000B94C: D86C0000 90000015
	ds_read_b32 v145, v21 offset:64                            // 00000000B954: D86C0040 91000015
	ds_read_b32 v148, v21 offset:2176                          // 00000000B95C: D86C0880 94000015
	ds_read_b32 v149, v21 offset:2240                          // 00000000B964: D86C08C0 95000015
	ds_read_b32 v152, v21 offset:4352                          // 00000000B96C: D86C1100 98000015
	ds_read_b32 v153, v21 offset:4416                          // 00000000B974: D86C1140 99000015
	ds_read_b32 v156, v21 offset:6528                          // 00000000B97C: D86C1980 9C000015
	ds_read_b32 v157, v21 offset:6592                          // 00000000B984: D86C19C0 9D000015
	ds_read_b32 v160, v21 offset:8704                          // 00000000B98C: D86C2200 A0000015
	ds_read_b32 v161, v21 offset:8768                          // 00000000B994: D86C2240 A1000015
	ds_read_b32 v164, v21 offset:10880                         // 00000000B99C: D86C2A80 A4000015
	ds_read_b32 v165, v21 offset:10944                         // 00000000B9A4: D86C2AC0 A5000015
	ds_read_b32 v168, v21 offset:13056                         // 00000000B9AC: D86C3300 A8000015
	ds_read_b32 v169, v21 offset:13120                         // 00000000B9B4: D86C3340 A9000015
	ds_read_b32 v172, v21 offset:15232                         // 00000000B9BC: D86C3B80 AC000015
	ds_read_b32 v173, v21 offset:15296                         // 00000000B9C4: D86C3BC0 AD000015
	ds_read_b32 v176, v21 offset:17408                         // 00000000B9CC: D86C4400 B0000015
	ds_read_b32 v177, v21 offset:17472                         // 00000000B9D4: D86C4440 B1000015
	ds_read_b32 v180, v21 offset:19584                         // 00000000B9DC: D86C4C80 B4000015
	ds_read_b32 v181, v21 offset:19648                         // 00000000B9E4: D86C4CC0 B5000015
	ds_read_b32 v184, v21 offset:21760                         // 00000000B9EC: D86C5500 B8000015
	ds_read_b32 v185, v21 offset:21824                         // 00000000B9F4: D86C5540 B9000015
	ds_read_b32 v188, v21 offset:23936                         // 00000000B9FC: D86C5D80 BC000015
	ds_read_b32 v189, v21 offset:24000                         // 00000000BA04: D86C5DC0 BD000015
	ds_read_b32 v192, v21 offset:26112                         // 00000000BA0C: D86C6600 C0000015
	ds_read_b32 v193, v21 offset:26176                         // 00000000BA14: D86C6640 C1000015
	ds_read_b32 v196, v21 offset:28288                         // 00000000BA1C: D86C6E80 C4000015
	ds_read_b32 v197, v21 offset:28352                         // 00000000BA24: D86C6EC0 C5000015
	ds_read_b32 v200, v21 offset:30464                         // 00000000BA2C: D86C7700 C8000015
	ds_read_b32 v201, v21 offset:30528                         // 00000000BA34: D86C7740 C9000015
	ds_read_b32 v204, v21 offset:32640                         // 00000000BA3C: D86C7F80 CC000015
	ds_read_b32 v205, v21 offset:32704                         // 00000000BA44: D86C7FC0 CD000015
	s_mul_i32 s60, s65, 4                                      // 00000000BA4C: 923C8441
	s_add_u32 s8, s60, s8                                      // 00000000BA50: 8008083C
	s_addc_u32 s9, 0, s9                                       // 00000000BA54: 82090980
	s_waitcnt lgkmcnt(0)                                       // 00000000BA58: BF8CC07F
	v_mov_b32_e32 v7, 0                                        // 00000000BA5C: 7E0E0280
	s_mov_b64 exec, s[36:37]                                   // 00000000BA60: BEFE0124
	v_mov_b32_e32 v6, v62                                      // 00000000BA64: 7E0C033E
	s_mov_b64 s[60:61], 0                                      // 00000000BA68: BEBC0180
	v_readlane_b32 s82, v3, 0                                  // 00000000BA6C: D2890052 00010103
	s_and_b32 s82, s82, 0xffffff                               // 00000000BA74: 8652FF52 00FFFFFF
	s_cmp_lt_u32 s82, s66                                      // 00000000BA7C: BF0A4252
	s_cselect_b32 s20, s36, s60                                // 00000000BA80: 85143C24
	v_readlane_b32 s82, v3, 1                                  // 00000000BA84: D2890052 00010303
	s_and_b32 s82, s82, 0xffffff                               // 00000000BA8C: 8652FF52 00FFFFFF
	s_cmp_lt_u32 s82, s66                                      // 00000000BA94: BF0A4252
	s_cselect_b32 s21, s36, s60                                // 00000000BA98: 85153C24
	s_mov_b64 exec, s[20:21]                                   // 00000000BA9C: BEFE0114
	global_atomic_add_f32 v6, v144, s[8:9]                     // 00000000BAA0: DD348000 00089006
	global_atomic_add_f32 v6, v148, s[8:9] offset:256          // 00000000BAA8: DD348100 00089406
	s_mov_b64 exec, s[36:37]                                   // 00000000BAB0: BEFE0124
	v_mov_b32_e32 v6, v63                                      // 00000000BAB4: 7E0C033F
	s_mov_b64 s[60:61], 0                                      // 00000000BAB8: BEBC0180
	v_readlane_b32 s82, v3, 2                                  // 00000000BABC: D2890052 00010503
	s_and_b32 s82, s82, 0xffffff                               // 00000000BAC4: 8652FF52 00FFFFFF
	s_cmp_lt_u32 s82, s66                                      // 00000000BACC: BF0A4252
	s_cselect_b32 s20, s36, s60                                // 00000000BAD0: 85143C24
	v_readlane_b32 s82, v3, 3                                  // 00000000BAD4: D2890052 00010703
	s_and_b32 s82, s82, 0xffffff                               // 00000000BADC: 8652FF52 00FFFFFF
	s_cmp_lt_u32 s82, s66                                      // 00000000BAE4: BF0A4252
	s_cselect_b32 s21, s36, s60                                // 00000000BAE8: 85153C24
	s_mov_b64 exec, s[20:21]                                   // 00000000BAEC: BEFE0114
	global_atomic_add_f32 v6, v145, s[8:9]                     // 00000000BAF0: DD348000 00089106
	global_atomic_add_f32 v6, v149, s[8:9] offset:256          // 00000000BAF8: DD348100 00089506
	s_mov_b64 exec, s[36:37]                                   // 00000000BB00: BEFE0124
	v_mov_b32_e32 v6, v64                                      // 00000000BB04: 7E0C0340
	s_mov_b64 s[60:61], 0                                      // 00000000BB08: BEBC0180
	v_readlane_b32 s82, v3, 4                                  // 00000000BB0C: D2890052 00010903
	s_and_b32 s82, s82, 0xffffff                               // 00000000BB14: 8652FF52 00FFFFFF
	s_cmp_lt_u32 s82, s66                                      // 00000000BB1C: BF0A4252
	s_cselect_b32 s20, s36, s60                                // 00000000BB20: 85143C24
	v_readlane_b32 s82, v3, 5                                  // 00000000BB24: D2890052 00010B03
	s_and_b32 s82, s82, 0xffffff                               // 00000000BB2C: 8652FF52 00FFFFFF
	s_cmp_lt_u32 s82, s66                                      // 00000000BB34: BF0A4252
	s_cselect_b32 s21, s36, s60                                // 00000000BB38: 85153C24
	s_mov_b64 exec, s[20:21]                                   // 00000000BB3C: BEFE0114
	global_atomic_add_f32 v6, v152, s[8:9]                     // 00000000BB40: DD348000 00089806
	global_atomic_add_f32 v6, v156, s[8:9] offset:256          // 00000000BB48: DD348100 00089C06
	s_mov_b64 exec, s[36:37]                                   // 00000000BB50: BEFE0124
	v_mov_b32_e32 v6, v65                                      // 00000000BB54: 7E0C0341
	s_mov_b64 s[60:61], 0                                      // 00000000BB58: BEBC0180
	v_readlane_b32 s82, v3, 6                                  // 00000000BB5C: D2890052 00010D03
	s_and_b32 s82, s82, 0xffffff                               // 00000000BB64: 8652FF52 00FFFFFF
	s_cmp_lt_u32 s82, s66                                      // 00000000BB6C: BF0A4252
	s_cselect_b32 s20, s36, s60                                // 00000000BB70: 85143C24
	v_readlane_b32 s82, v3, 7                                  // 00000000BB74: D2890052 00010F03
	s_and_b32 s82, s82, 0xffffff                               // 00000000BB7C: 8652FF52 00FFFFFF
	s_cmp_lt_u32 s82, s66                                      // 00000000BB84: BF0A4252
	s_cselect_b32 s21, s36, s60                                // 00000000BB88: 85153C24
	s_mov_b64 exec, s[20:21]                                   // 00000000BB8C: BEFE0114
	global_atomic_add_f32 v6, v153, s[8:9]                     // 00000000BB90: DD348000 00089906
	global_atomic_add_f32 v6, v157, s[8:9] offset:256          // 00000000BB98: DD348100 00089D06
	s_mov_b64 exec, s[36:37]                                   // 00000000BBA0: BEFE0124
	v_mov_b32_e32 v6, v66                                      // 00000000BBA4: 7E0C0342
	s_mov_b64 s[60:61], 0                                      // 00000000BBA8: BEBC0180
	v_readlane_b32 s82, v3, 8                                  // 00000000BBAC: D2890052 00011103
	s_and_b32 s82, s82, 0xffffff                               // 00000000BBB4: 8652FF52 00FFFFFF
	s_cmp_lt_u32 s82, s66                                      // 00000000BBBC: BF0A4252
	s_cselect_b32 s20, s36, s60                                // 00000000BBC0: 85143C24
	v_readlane_b32 s82, v3, 9                                  // 00000000BBC4: D2890052 00011303
	s_and_b32 s82, s82, 0xffffff                               // 00000000BBCC: 8652FF52 00FFFFFF
	s_cmp_lt_u32 s82, s66                                      // 00000000BBD4: BF0A4252
	s_cselect_b32 s21, s36, s60                                // 00000000BBD8: 85153C24
	s_mov_b64 exec, s[20:21]                                   // 00000000BBDC: BEFE0114
	global_atomic_add_f32 v6, v160, s[8:9]                     // 00000000BBE0: DD348000 0008A006
	global_atomic_add_f32 v6, v164, s[8:9] offset:256          // 00000000BBE8: DD348100 0008A406
	s_mov_b64 exec, s[36:37]                                   // 00000000BBF0: BEFE0124
	v_mov_b32_e32 v6, v67                                      // 00000000BBF4: 7E0C0343
	s_mov_b64 s[60:61], 0                                      // 00000000BBF8: BEBC0180
	v_readlane_b32 s82, v3, 10                                 // 00000000BBFC: D2890052 00011503
	s_and_b32 s82, s82, 0xffffff                               // 00000000BC04: 8652FF52 00FFFFFF
	s_cmp_lt_u32 s82, s66                                      // 00000000BC0C: BF0A4252
	s_cselect_b32 s20, s36, s60                                // 00000000BC10: 85143C24
	v_readlane_b32 s82, v3, 11                                 // 00000000BC14: D2890052 00011703
	s_and_b32 s82, s82, 0xffffff                               // 00000000BC1C: 8652FF52 00FFFFFF
	s_cmp_lt_u32 s82, s66                                      // 00000000BC24: BF0A4252
	s_cselect_b32 s21, s36, s60                                // 00000000BC28: 85153C24
	s_mov_b64 exec, s[20:21]                                   // 00000000BC2C: BEFE0114
	global_atomic_add_f32 v6, v161, s[8:9]                     // 00000000BC30: DD348000 0008A106
	global_atomic_add_f32 v6, v165, s[8:9] offset:256          // 00000000BC38: DD348100 0008A506
	s_mov_b64 exec, s[36:37]                                   // 00000000BC40: BEFE0124
	v_mov_b32_e32 v6, v68                                      // 00000000BC44: 7E0C0344
	s_mov_b64 s[60:61], 0                                      // 00000000BC48: BEBC0180
	v_readlane_b32 s82, v3, 12                                 // 00000000BC4C: D2890052 00011903
	s_and_b32 s82, s82, 0xffffff                               // 00000000BC54: 8652FF52 00FFFFFF
	s_cmp_lt_u32 s82, s66                                      // 00000000BC5C: BF0A4252
	s_cselect_b32 s20, s36, s60                                // 00000000BC60: 85143C24
	v_readlane_b32 s82, v3, 13                                 // 00000000BC64: D2890052 00011B03
	s_and_b32 s82, s82, 0xffffff                               // 00000000BC6C: 8652FF52 00FFFFFF
	s_cmp_lt_u32 s82, s66                                      // 00000000BC74: BF0A4252
	s_cselect_b32 s21, s36, s60                                // 00000000BC78: 85153C24
	s_mov_b64 exec, s[20:21]                                   // 00000000BC7C: BEFE0114
	global_atomic_add_f32 v6, v168, s[8:9]                     // 00000000BC80: DD348000 0008A806
	global_atomic_add_f32 v6, v172, s[8:9] offset:256          // 00000000BC88: DD348100 0008AC06
	s_mov_b64 exec, s[36:37]                                   // 00000000BC90: BEFE0124
	v_mov_b32_e32 v6, v69                                      // 00000000BC94: 7E0C0345
	s_mov_b64 s[60:61], 0                                      // 00000000BC98: BEBC0180
	v_readlane_b32 s82, v3, 14                                 // 00000000BC9C: D2890052 00011D03
	s_and_b32 s82, s82, 0xffffff                               // 00000000BCA4: 8652FF52 00FFFFFF
	s_cmp_lt_u32 s82, s66                                      // 00000000BCAC: BF0A4252
	s_cselect_b32 s20, s36, s60                                // 00000000BCB0: 85143C24
	v_readlane_b32 s82, v3, 15                                 // 00000000BCB4: D2890052 00011F03
	s_and_b32 s82, s82, 0xffffff                               // 00000000BCBC: 8652FF52 00FFFFFF
	s_cmp_lt_u32 s82, s66                                      // 00000000BCC4: BF0A4252
	s_cselect_b32 s21, s36, s60                                // 00000000BCC8: 85153C24
	s_mov_b64 exec, s[20:21]                                   // 00000000BCCC: BEFE0114
	global_atomic_add_f32 v6, v169, s[8:9]                     // 00000000BCD0: DD348000 0008A906
	global_atomic_add_f32 v6, v173, s[8:9] offset:256          // 00000000BCD8: DD348100 0008AD06
	s_mov_b64 exec, s[36:37]                                   // 00000000BCE0: BEFE0124
	v_mov_b32_e32 v6, v70                                      // 00000000BCE4: 7E0C0346
	s_mov_b64 s[60:61], 0                                      // 00000000BCE8: BEBC0180
	v_readlane_b32 s82, v3, 16                                 // 00000000BCEC: D2890052 00012103
	s_and_b32 s82, s82, 0xffffff                               // 00000000BCF4: 8652FF52 00FFFFFF
	s_cmp_lt_u32 s82, s66                                      // 00000000BCFC: BF0A4252
	s_cselect_b32 s20, s36, s60                                // 00000000BD00: 85143C24
	v_readlane_b32 s82, v3, 17                                 // 00000000BD04: D2890052 00012303
	s_and_b32 s82, s82, 0xffffff                               // 00000000BD0C: 8652FF52 00FFFFFF
	s_cmp_lt_u32 s82, s66                                      // 00000000BD14: BF0A4252
	s_cselect_b32 s21, s36, s60                                // 00000000BD18: 85153C24
	s_mov_b64 exec, s[20:21]                                   // 00000000BD1C: BEFE0114
	global_atomic_add_f32 v6, v176, s[8:9]                     // 00000000BD20: DD348000 0008B006
	global_atomic_add_f32 v6, v180, s[8:9] offset:256          // 00000000BD28: DD348100 0008B406
	s_mov_b64 exec, s[36:37]                                   // 00000000BD30: BEFE0124
	v_mov_b32_e32 v6, v71                                      // 00000000BD34: 7E0C0347
	s_mov_b64 s[60:61], 0                                      // 00000000BD38: BEBC0180
	v_readlane_b32 s82, v3, 18                                 // 00000000BD3C: D2890052 00012503
	s_and_b32 s82, s82, 0xffffff                               // 00000000BD44: 8652FF52 00FFFFFF
	s_cmp_lt_u32 s82, s66                                      // 00000000BD4C: BF0A4252
	s_cselect_b32 s20, s36, s60                                // 00000000BD50: 85143C24
	v_readlane_b32 s82, v3, 19                                 // 00000000BD54: D2890052 00012703
	s_and_b32 s82, s82, 0xffffff                               // 00000000BD5C: 8652FF52 00FFFFFF
	s_cmp_lt_u32 s82, s66                                      // 00000000BD64: BF0A4252
	s_cselect_b32 s21, s36, s60                                // 00000000BD68: 85153C24
	s_mov_b64 exec, s[20:21]                                   // 00000000BD6C: BEFE0114
	global_atomic_add_f32 v6, v177, s[8:9]                     // 00000000BD70: DD348000 0008B106
	global_atomic_add_f32 v6, v181, s[8:9] offset:256          // 00000000BD78: DD348100 0008B506
	s_mov_b64 exec, s[36:37]                                   // 00000000BD80: BEFE0124
	v_mov_b32_e32 v6, v72                                      // 00000000BD84: 7E0C0348
	s_mov_b64 s[60:61], 0                                      // 00000000BD88: BEBC0180
	v_readlane_b32 s82, v3, 20                                 // 00000000BD8C: D2890052 00012903
	s_and_b32 s82, s82, 0xffffff                               // 00000000BD94: 8652FF52 00FFFFFF
	s_cmp_lt_u32 s82, s66                                      // 00000000BD9C: BF0A4252
	s_cselect_b32 s20, s36, s60                                // 00000000BDA0: 85143C24
	v_readlane_b32 s82, v3, 21                                 // 00000000BDA4: D2890052 00012B03
	s_and_b32 s82, s82, 0xffffff                               // 00000000BDAC: 8652FF52 00FFFFFF
	s_cmp_lt_u32 s82, s66                                      // 00000000BDB4: BF0A4252
	s_cselect_b32 s21, s36, s60                                // 00000000BDB8: 85153C24
	s_mov_b64 exec, s[20:21]                                   // 00000000BDBC: BEFE0114
	global_atomic_add_f32 v6, v184, s[8:9]                     // 00000000BDC0: DD348000 0008B806
	global_atomic_add_f32 v6, v188, s[8:9] offset:256          // 00000000BDC8: DD348100 0008BC06
	s_mov_b64 exec, s[36:37]                                   // 00000000BDD0: BEFE0124
	v_mov_b32_e32 v6, v73                                      // 00000000BDD4: 7E0C0349
	s_mov_b64 s[60:61], 0                                      // 00000000BDD8: BEBC0180
	v_readlane_b32 s82, v3, 22                                 // 00000000BDDC: D2890052 00012D03
	s_and_b32 s82, s82, 0xffffff                               // 00000000BDE4: 8652FF52 00FFFFFF
	s_cmp_lt_u32 s82, s66                                      // 00000000BDEC: BF0A4252
	s_cselect_b32 s20, s36, s60                                // 00000000BDF0: 85143C24
	v_readlane_b32 s82, v3, 23                                 // 00000000BDF4: D2890052 00012F03
	s_and_b32 s82, s82, 0xffffff                               // 00000000BDFC: 8652FF52 00FFFFFF
	s_cmp_lt_u32 s82, s66                                      // 00000000BE04: BF0A4252
	s_cselect_b32 s21, s36, s60                                // 00000000BE08: 85153C24
	s_mov_b64 exec, s[20:21]                                   // 00000000BE0C: BEFE0114
	global_atomic_add_f32 v6, v185, s[8:9]                     // 00000000BE10: DD348000 0008B906
	global_atomic_add_f32 v6, v189, s[8:9] offset:256          // 00000000BE18: DD348100 0008BD06
	s_mov_b64 exec, s[36:37]                                   // 00000000BE20: BEFE0124
	v_mov_b32_e32 v6, v74                                      // 00000000BE24: 7E0C034A
	s_mov_b64 s[60:61], 0                                      // 00000000BE28: BEBC0180
	v_readlane_b32 s82, v3, 24                                 // 00000000BE2C: D2890052 00013103
	s_and_b32 s82, s82, 0xffffff                               // 00000000BE34: 8652FF52 00FFFFFF
	s_cmp_lt_u32 s82, s66                                      // 00000000BE3C: BF0A4252
	s_cselect_b32 s20, s36, s60                                // 00000000BE40: 85143C24
	v_readlane_b32 s82, v3, 25                                 // 00000000BE44: D2890052 00013303
	s_and_b32 s82, s82, 0xffffff                               // 00000000BE4C: 8652FF52 00FFFFFF
	s_cmp_lt_u32 s82, s66                                      // 00000000BE54: BF0A4252
	s_cselect_b32 s21, s36, s60                                // 00000000BE58: 85153C24
	s_mov_b64 exec, s[20:21]                                   // 00000000BE5C: BEFE0114
	global_atomic_add_f32 v6, v192, s[8:9]                     // 00000000BE60: DD348000 0008C006
	global_atomic_add_f32 v6, v196, s[8:9] offset:256          // 00000000BE68: DD348100 0008C406
	s_mov_b64 exec, s[36:37]                                   // 00000000BE70: BEFE0124
	v_mov_b32_e32 v6, v75                                      // 00000000BE74: 7E0C034B
	s_mov_b64 s[60:61], 0                                      // 00000000BE78: BEBC0180
	v_readlane_b32 s82, v3, 26                                 // 00000000BE7C: D2890052 00013503
	s_and_b32 s82, s82, 0xffffff                               // 00000000BE84: 8652FF52 00FFFFFF
	s_cmp_lt_u32 s82, s66                                      // 00000000BE8C: BF0A4252
	s_cselect_b32 s20, s36, s60                                // 00000000BE90: 85143C24
	v_readlane_b32 s82, v3, 27                                 // 00000000BE94: D2890052 00013703
	s_and_b32 s82, s82, 0xffffff                               // 00000000BE9C: 8652FF52 00FFFFFF
	s_cmp_lt_u32 s82, s66                                      // 00000000BEA4: BF0A4252
	s_cselect_b32 s21, s36, s60                                // 00000000BEA8: 85153C24
	s_mov_b64 exec, s[20:21]                                   // 00000000BEAC: BEFE0114
	global_atomic_add_f32 v6, v193, s[8:9]                     // 00000000BEB0: DD348000 0008C106
	global_atomic_add_f32 v6, v197, s[8:9] offset:256          // 00000000BEB8: DD348100 0008C506
	s_mov_b64 exec, s[36:37]                                   // 00000000BEC0: BEFE0124
	v_mov_b32_e32 v6, v76                                      // 00000000BEC4: 7E0C034C
	s_mov_b64 s[60:61], 0                                      // 00000000BEC8: BEBC0180
	v_readlane_b32 s82, v3, 28                                 // 00000000BECC: D2890052 00013903
	s_and_b32 s82, s82, 0xffffff                               // 00000000BED4: 8652FF52 00FFFFFF
	s_cmp_lt_u32 s82, s66                                      // 00000000BEDC: BF0A4252
	s_cselect_b32 s20, s36, s60                                // 00000000BEE0: 85143C24
	v_readlane_b32 s82, v3, 29                                 // 00000000BEE4: D2890052 00013B03
	s_and_b32 s82, s82, 0xffffff                               // 00000000BEEC: 8652FF52 00FFFFFF
	s_cmp_lt_u32 s82, s66                                      // 00000000BEF4: BF0A4252
	s_cselect_b32 s21, s36, s60                                // 00000000BEF8: 85153C24
	s_mov_b64 exec, s[20:21]                                   // 00000000BEFC: BEFE0114
	global_atomic_add_f32 v6, v200, s[8:9]                     // 00000000BF00: DD348000 0008C806
	global_atomic_add_f32 v6, v204, s[8:9] offset:256          // 00000000BF08: DD348100 0008CC06
	s_mov_b64 exec, s[36:37]                                   // 00000000BF10: BEFE0124
	v_mov_b32_e32 v6, v77                                      // 00000000BF14: 7E0C034D
	s_mov_b64 s[60:61], 0                                      // 00000000BF18: BEBC0180
	v_readlane_b32 s82, v3, 30                                 // 00000000BF1C: D2890052 00013D03
	s_and_b32 s82, s82, 0xffffff                               // 00000000BF24: 8652FF52 00FFFFFF
	s_cmp_lt_u32 s82, s66                                      // 00000000BF2C: BF0A4252
	s_cselect_b32 s20, s36, s60                                // 00000000BF30: 85143C24
	v_readlane_b32 s82, v3, 31                                 // 00000000BF34: D2890052 00013F03
	s_and_b32 s82, s82, 0xffffff                               // 00000000BF3C: 8652FF52 00FFFFFF
	s_cmp_lt_u32 s82, s66                                      // 00000000BF44: BF0A4252
	s_cselect_b32 s21, s36, s60                                // 00000000BF48: 85153C24
	s_mov_b64 exec, s[20:21]                                   // 00000000BF4C: BEFE0114
	global_atomic_add_f32 v6, v201, s[8:9]                     // 00000000BF50: DD348000 0008C906
	global_atomic_add_f32 v6, v205, s[8:9] offset:256          // 00000000BF58: DD348100 0008CD06
	s_mov_b64 exec, s[36:37]                                   // 00000000BF60: BEFE0124
	ds_write_b64 v20, v[146:147]                               // 00000000BF64: D89A0000 00009214
	ds_write_b64 v20, v[150:151] offset:4352                   // 00000000BF6C: D89A1100 00009614
	ds_write_b64 v20, v[154:155] offset:8704                   // 00000000BF74: D89A2200 00009A14
	ds_write_b64 v20, v[158:159] offset:13056                  // 00000000BF7C: D89A3300 00009E14
	ds_write_b64 v20, v[162:163] offset:17408                  // 00000000BF84: D89A4400 0000A214
	ds_write_b64 v20, v[166:167] offset:21760                  // 00000000BF8C: D89A5500 0000A614
	ds_write_b64 v20, v[170:171] offset:26112                  // 00000000BF94: D89A6600 0000AA14
	ds_write_b64 v20, v[174:175] offset:30464                  // 00000000BF9C: D89A7700 0000AE14
	ds_write_b64 v20, v[178:179] offset:2176                   // 00000000BFA4: D89A0880 0000B214
	ds_write_b64 v20, v[182:183] offset:6528                   // 00000000BFAC: D89A1980 0000B614
	ds_write_b64 v20, v[186:187] offset:10880                  // 00000000BFB4: D89A2A80 0000BA14
	ds_write_b64 v20, v[190:191] offset:15232                  // 00000000BFBC: D89A3B80 0000BE14
	ds_write_b64 v20, v[194:195] offset:19584                  // 00000000BFC4: D89A4C80 0000C214
	ds_write_b64 v20, v[198:199] offset:23936                  // 00000000BFCC: D89A5D80 0000C614
	ds_write_b64 v20, v[202:203] offset:28288                  // 00000000BFD4: D89A6E80 0000CA14
	ds_write_b64 v20, v[206:207] offset:32640                  // 00000000BFDC: D89A7F80 0000CE14
	s_waitcnt lgkmcnt(0)                                       // 00000000BFE4: BF8CC07F
	s_barrier                                                  // 00000000BFE8: BF8A0000
	ds_read_b32 v146, v21                                      // 00000000BFEC: D86C0000 92000015
	ds_read_b32 v147, v21 offset:64                            // 00000000BFF4: D86C0040 93000015
	ds_read_b32 v150, v21 offset:2176                          // 00000000BFFC: D86C0880 96000015
	ds_read_b32 v151, v21 offset:2240                          // 00000000C004: D86C08C0 97000015
	ds_read_b32 v154, v21 offset:4352                          // 00000000C00C: D86C1100 9A000015
	ds_read_b32 v155, v21 offset:4416                          // 00000000C014: D86C1140 9B000015
	ds_read_b32 v158, v21 offset:6528                          // 00000000C01C: D86C1980 9E000015
	ds_read_b32 v159, v21 offset:6592                          // 00000000C024: D86C19C0 9F000015
	ds_read_b32 v162, v21 offset:8704                          // 00000000C02C: D86C2200 A2000015
	ds_read_b32 v163, v21 offset:8768                          // 00000000C034: D86C2240 A3000015
	ds_read_b32 v166, v21 offset:10880                         // 00000000C03C: D86C2A80 A6000015
	ds_read_b32 v167, v21 offset:10944                         // 00000000C044: D86C2AC0 A7000015
	ds_read_b32 v170, v21 offset:13056                         // 00000000C04C: D86C3300 AA000015
	ds_read_b32 v171, v21 offset:13120                         // 00000000C054: D86C3340 AB000015
	ds_read_b32 v174, v21 offset:15232                         // 00000000C05C: D86C3B80 AE000015
	ds_read_b32 v175, v21 offset:15296                         // 00000000C064: D86C3BC0 AF000015
	ds_read_b32 v178, v21 offset:17408                         // 00000000C06C: D86C4400 B2000015
	ds_read_b32 v179, v21 offset:17472                         // 00000000C074: D86C4440 B3000015
	ds_read_b32 v182, v21 offset:19584                         // 00000000C07C: D86C4C80 B6000015
	ds_read_b32 v183, v21 offset:19648                         // 00000000C084: D86C4CC0 B7000015
	ds_read_b32 v186, v21 offset:21760                         // 00000000C08C: D86C5500 BA000015
	ds_read_b32 v187, v21 offset:21824                         // 00000000C094: D86C5540 BB000015
	ds_read_b32 v190, v21 offset:23936                         // 00000000C09C: D86C5D80 BE000015
	ds_read_b32 v191, v21 offset:24000                         // 00000000C0A4: D86C5DC0 BF000015
	ds_read_b32 v194, v21 offset:26112                         // 00000000C0AC: D86C6600 C2000015
	ds_read_b32 v195, v21 offset:26176                         // 00000000C0B4: D86C6640 C3000015
	ds_read_b32 v198, v21 offset:28288                         // 00000000C0BC: D86C6E80 C6000015
	ds_read_b32 v199, v21 offset:28352                         // 00000000C0C4: D86C6EC0 C7000015
	ds_read_b32 v202, v21 offset:30464                         // 00000000C0CC: D86C7700 CA000015
	ds_read_b32 v203, v21 offset:30528                         // 00000000C0D4: D86C7740 CB000015
	ds_read_b32 v206, v21 offset:32640                         // 00000000C0DC: D86C7F80 CE000015
	ds_read_b32 v207, v21 offset:32704                         // 00000000C0E4: D86C7FC0 CF000015
	s_waitcnt lgkmcnt(0)                                       // 00000000C0EC: BF8CC07F
	v_mov_b32_e32 v7, 0                                        // 00000000C0F0: 7E0E0280
	s_mov_b64 exec, s[36:37]                                   // 00000000C0F4: BEFE0124
	v_mov_b32_e32 v6, v62                                      // 00000000C0F8: 7E0C033E
	s_mov_b64 s[60:61], 0                                      // 00000000C0FC: BEBC0180
	v_readlane_b32 s82, v3, 0                                  // 00000000C100: D2890052 00010103
	s_and_b32 s82, s82, 0xffffff                               // 00000000C108: 8652FF52 00FFFFFF
	s_cmp_lt_u32 s82, s66                                      // 00000000C110: BF0A4252
	s_cselect_b32 s20, s36, s60                                // 00000000C114: 85143C24
	v_readlane_b32 s82, v3, 1                                  // 00000000C118: D2890052 00010303
	s_and_b32 s82, s82, 0xffffff                               // 00000000C120: 8652FF52 00FFFFFF
	s_cmp_lt_u32 s82, s66                                      // 00000000C128: BF0A4252
	s_cselect_b32 s21, s36, s60                                // 00000000C12C: 85153C24
	s_mov_b64 exec, s[20:21]                                   // 00000000C130: BEFE0114
	global_atomic_add_f32 v6, v146, s[8:9] offset:8            // 00000000C134: DD348008 00089206
	global_atomic_add_f32 v6, v150, s[8:9] offset:264          // 00000000C13C: DD348108 00089606
	s_mov_b64 exec, s[36:37]                                   // 00000000C144: BEFE0124
	v_mov_b32_e32 v6, v63                                      // 00000000C148: 7E0C033F
	s_mov_b64 s[60:61], 0                                      // 00000000C14C: BEBC0180
	v_readlane_b32 s82, v3, 2                                  // 00000000C150: D2890052 00010503
	s_and_b32 s82, s82, 0xffffff                               // 00000000C158: 8652FF52 00FFFFFF
	s_cmp_lt_u32 s82, s66                                      // 00000000C160: BF0A4252
	s_cselect_b32 s20, s36, s60                                // 00000000C164: 85143C24
	v_readlane_b32 s82, v3, 3                                  // 00000000C168: D2890052 00010703
	s_and_b32 s82, s82, 0xffffff                               // 00000000C170: 8652FF52 00FFFFFF
	s_cmp_lt_u32 s82, s66                                      // 00000000C178: BF0A4252
	s_cselect_b32 s21, s36, s60                                // 00000000C17C: 85153C24
	s_mov_b64 exec, s[20:21]                                   // 00000000C180: BEFE0114
	global_atomic_add_f32 v6, v147, s[8:9] offset:8            // 00000000C184: DD348008 00089306
	global_atomic_add_f32 v6, v151, s[8:9] offset:264          // 00000000C18C: DD348108 00089706
	s_mov_b64 exec, s[36:37]                                   // 00000000C194: BEFE0124
	v_mov_b32_e32 v6, v64                                      // 00000000C198: 7E0C0340
	s_mov_b64 s[60:61], 0                                      // 00000000C19C: BEBC0180
	v_readlane_b32 s82, v3, 4                                  // 00000000C1A0: D2890052 00010903
	s_and_b32 s82, s82, 0xffffff                               // 00000000C1A8: 8652FF52 00FFFFFF
	s_cmp_lt_u32 s82, s66                                      // 00000000C1B0: BF0A4252
	s_cselect_b32 s20, s36, s60                                // 00000000C1B4: 85143C24
	v_readlane_b32 s82, v3, 5                                  // 00000000C1B8: D2890052 00010B03
	s_and_b32 s82, s82, 0xffffff                               // 00000000C1C0: 8652FF52 00FFFFFF
	s_cmp_lt_u32 s82, s66                                      // 00000000C1C8: BF0A4252
	s_cselect_b32 s21, s36, s60                                // 00000000C1CC: 85153C24
	s_mov_b64 exec, s[20:21]                                   // 00000000C1D0: BEFE0114
	global_atomic_add_f32 v6, v154, s[8:9] offset:8            // 00000000C1D4: DD348008 00089A06
	global_atomic_add_f32 v6, v158, s[8:9] offset:264          // 00000000C1DC: DD348108 00089E06
	s_mov_b64 exec, s[36:37]                                   // 00000000C1E4: BEFE0124
	v_mov_b32_e32 v6, v65                                      // 00000000C1E8: 7E0C0341
	s_mov_b64 s[60:61], 0                                      // 00000000C1EC: BEBC0180
	v_readlane_b32 s82, v3, 6                                  // 00000000C1F0: D2890052 00010D03
	s_and_b32 s82, s82, 0xffffff                               // 00000000C1F8: 8652FF52 00FFFFFF
	s_cmp_lt_u32 s82, s66                                      // 00000000C200: BF0A4252
	s_cselect_b32 s20, s36, s60                                // 00000000C204: 85143C24
	v_readlane_b32 s82, v3, 7                                  // 00000000C208: D2890052 00010F03
	s_and_b32 s82, s82, 0xffffff                               // 00000000C210: 8652FF52 00FFFFFF
	s_cmp_lt_u32 s82, s66                                      // 00000000C218: BF0A4252
	s_cselect_b32 s21, s36, s60                                // 00000000C21C: 85153C24
	s_mov_b64 exec, s[20:21]                                   // 00000000C220: BEFE0114
	global_atomic_add_f32 v6, v155, s[8:9] offset:8            // 00000000C224: DD348008 00089B06
	global_atomic_add_f32 v6, v159, s[8:9] offset:264          // 00000000C22C: DD348108 00089F06
	s_mov_b64 exec, s[36:37]                                   // 00000000C234: BEFE0124
	v_mov_b32_e32 v6, v66                                      // 00000000C238: 7E0C0342
	s_mov_b64 s[60:61], 0                                      // 00000000C23C: BEBC0180
	v_readlane_b32 s82, v3, 8                                  // 00000000C240: D2890052 00011103
	s_and_b32 s82, s82, 0xffffff                               // 00000000C248: 8652FF52 00FFFFFF
	s_cmp_lt_u32 s82, s66                                      // 00000000C250: BF0A4252
	s_cselect_b32 s20, s36, s60                                // 00000000C254: 85143C24
	v_readlane_b32 s82, v3, 9                                  // 00000000C258: D2890052 00011303
	s_and_b32 s82, s82, 0xffffff                               // 00000000C260: 8652FF52 00FFFFFF
	s_cmp_lt_u32 s82, s66                                      // 00000000C268: BF0A4252
	s_cselect_b32 s21, s36, s60                                // 00000000C26C: 85153C24
	s_mov_b64 exec, s[20:21]                                   // 00000000C270: BEFE0114
	global_atomic_add_f32 v6, v162, s[8:9] offset:8            // 00000000C274: DD348008 0008A206
	global_atomic_add_f32 v6, v166, s[8:9] offset:264          // 00000000C27C: DD348108 0008A606
	s_mov_b64 exec, s[36:37]                                   // 00000000C284: BEFE0124
	v_mov_b32_e32 v6, v67                                      // 00000000C288: 7E0C0343
	s_mov_b64 s[60:61], 0                                      // 00000000C28C: BEBC0180
	v_readlane_b32 s82, v3, 10                                 // 00000000C290: D2890052 00011503
	s_and_b32 s82, s82, 0xffffff                               // 00000000C298: 8652FF52 00FFFFFF
	s_cmp_lt_u32 s82, s66                                      // 00000000C2A0: BF0A4252
	s_cselect_b32 s20, s36, s60                                // 00000000C2A4: 85143C24
	v_readlane_b32 s82, v3, 11                                 // 00000000C2A8: D2890052 00011703
	s_and_b32 s82, s82, 0xffffff                               // 00000000C2B0: 8652FF52 00FFFFFF
	s_cmp_lt_u32 s82, s66                                      // 00000000C2B8: BF0A4252
	s_cselect_b32 s21, s36, s60                                // 00000000C2BC: 85153C24
	s_mov_b64 exec, s[20:21]                                   // 00000000C2C0: BEFE0114
	global_atomic_add_f32 v6, v163, s[8:9] offset:8            // 00000000C2C4: DD348008 0008A306
	global_atomic_add_f32 v6, v167, s[8:9] offset:264          // 00000000C2CC: DD348108 0008A706
	s_mov_b64 exec, s[36:37]                                   // 00000000C2D4: BEFE0124
	v_mov_b32_e32 v6, v68                                      // 00000000C2D8: 7E0C0344
	s_mov_b64 s[60:61], 0                                      // 00000000C2DC: BEBC0180
	v_readlane_b32 s82, v3, 12                                 // 00000000C2E0: D2890052 00011903
	s_and_b32 s82, s82, 0xffffff                               // 00000000C2E8: 8652FF52 00FFFFFF
	s_cmp_lt_u32 s82, s66                                      // 00000000C2F0: BF0A4252
	s_cselect_b32 s20, s36, s60                                // 00000000C2F4: 85143C24
	v_readlane_b32 s82, v3, 13                                 // 00000000C2F8: D2890052 00011B03
	s_and_b32 s82, s82, 0xffffff                               // 00000000C300: 8652FF52 00FFFFFF
	s_cmp_lt_u32 s82, s66                                      // 00000000C308: BF0A4252
	s_cselect_b32 s21, s36, s60                                // 00000000C30C: 85153C24
	s_mov_b64 exec, s[20:21]                                   // 00000000C310: BEFE0114
	global_atomic_add_f32 v6, v170, s[8:9] offset:8            // 00000000C314: DD348008 0008AA06
	global_atomic_add_f32 v6, v174, s[8:9] offset:264          // 00000000C31C: DD348108 0008AE06
	s_mov_b64 exec, s[36:37]                                   // 00000000C324: BEFE0124
	v_mov_b32_e32 v6, v69                                      // 00000000C328: 7E0C0345
	s_mov_b64 s[60:61], 0                                      // 00000000C32C: BEBC0180
	v_readlane_b32 s82, v3, 14                                 // 00000000C330: D2890052 00011D03
	s_and_b32 s82, s82, 0xffffff                               // 00000000C338: 8652FF52 00FFFFFF
	s_cmp_lt_u32 s82, s66                                      // 00000000C340: BF0A4252
	s_cselect_b32 s20, s36, s60                                // 00000000C344: 85143C24
	v_readlane_b32 s82, v3, 15                                 // 00000000C348: D2890052 00011F03
	s_and_b32 s82, s82, 0xffffff                               // 00000000C350: 8652FF52 00FFFFFF
	s_cmp_lt_u32 s82, s66                                      // 00000000C358: BF0A4252
	s_cselect_b32 s21, s36, s60                                // 00000000C35C: 85153C24
	s_mov_b64 exec, s[20:21]                                   // 00000000C360: BEFE0114
	global_atomic_add_f32 v6, v171, s[8:9] offset:8            // 00000000C364: DD348008 0008AB06
	global_atomic_add_f32 v6, v175, s[8:9] offset:264          // 00000000C36C: DD348108 0008AF06
	s_mov_b64 exec, s[36:37]                                   // 00000000C374: BEFE0124
	v_mov_b32_e32 v6, v70                                      // 00000000C378: 7E0C0346
	s_mov_b64 s[60:61], 0                                      // 00000000C37C: BEBC0180
	v_readlane_b32 s82, v3, 16                                 // 00000000C380: D2890052 00012103
	s_and_b32 s82, s82, 0xffffff                               // 00000000C388: 8652FF52 00FFFFFF
	s_cmp_lt_u32 s82, s66                                      // 00000000C390: BF0A4252
	s_cselect_b32 s20, s36, s60                                // 00000000C394: 85143C24
	v_readlane_b32 s82, v3, 17                                 // 00000000C398: D2890052 00012303
	s_and_b32 s82, s82, 0xffffff                               // 00000000C3A0: 8652FF52 00FFFFFF
	s_cmp_lt_u32 s82, s66                                      // 00000000C3A8: BF0A4252
	s_cselect_b32 s21, s36, s60                                // 00000000C3AC: 85153C24
	s_mov_b64 exec, s[20:21]                                   // 00000000C3B0: BEFE0114
	global_atomic_add_f32 v6, v178, s[8:9] offset:8            // 00000000C3B4: DD348008 0008B206
	global_atomic_add_f32 v6, v182, s[8:9] offset:264          // 00000000C3BC: DD348108 0008B606
	s_mov_b64 exec, s[36:37]                                   // 00000000C3C4: BEFE0124
	v_mov_b32_e32 v6, v71                                      // 00000000C3C8: 7E0C0347
	s_mov_b64 s[60:61], 0                                      // 00000000C3CC: BEBC0180
	v_readlane_b32 s82, v3, 18                                 // 00000000C3D0: D2890052 00012503
	s_and_b32 s82, s82, 0xffffff                               // 00000000C3D8: 8652FF52 00FFFFFF
	s_cmp_lt_u32 s82, s66                                      // 00000000C3E0: BF0A4252
	s_cselect_b32 s20, s36, s60                                // 00000000C3E4: 85143C24
	v_readlane_b32 s82, v3, 19                                 // 00000000C3E8: D2890052 00012703
	s_and_b32 s82, s82, 0xffffff                               // 00000000C3F0: 8652FF52 00FFFFFF
	s_cmp_lt_u32 s82, s66                                      // 00000000C3F8: BF0A4252
	s_cselect_b32 s21, s36, s60                                // 00000000C3FC: 85153C24
	s_mov_b64 exec, s[20:21]                                   // 00000000C400: BEFE0114
	global_atomic_add_f32 v6, v179, s[8:9] offset:8            // 00000000C404: DD348008 0008B306
	global_atomic_add_f32 v6, v183, s[8:9] offset:264          // 00000000C40C: DD348108 0008B706
	s_mov_b64 exec, s[36:37]                                   // 00000000C414: BEFE0124
	v_mov_b32_e32 v6, v72                                      // 00000000C418: 7E0C0348
	s_mov_b64 s[60:61], 0                                      // 00000000C41C: BEBC0180
	v_readlane_b32 s82, v3, 20                                 // 00000000C420: D2890052 00012903
	s_and_b32 s82, s82, 0xffffff                               // 00000000C428: 8652FF52 00FFFFFF
	s_cmp_lt_u32 s82, s66                                      // 00000000C430: BF0A4252
	s_cselect_b32 s20, s36, s60                                // 00000000C434: 85143C24
	v_readlane_b32 s82, v3, 21                                 // 00000000C438: D2890052 00012B03
	s_and_b32 s82, s82, 0xffffff                               // 00000000C440: 8652FF52 00FFFFFF
	s_cmp_lt_u32 s82, s66                                      // 00000000C448: BF0A4252
	s_cselect_b32 s21, s36, s60                                // 00000000C44C: 85153C24
	s_mov_b64 exec, s[20:21]                                   // 00000000C450: BEFE0114
	global_atomic_add_f32 v6, v186, s[8:9] offset:8            // 00000000C454: DD348008 0008BA06
	global_atomic_add_f32 v6, v190, s[8:9] offset:264          // 00000000C45C: DD348108 0008BE06
	s_mov_b64 exec, s[36:37]                                   // 00000000C464: BEFE0124
	v_mov_b32_e32 v6, v73                                      // 00000000C468: 7E0C0349
	s_mov_b64 s[60:61], 0                                      // 00000000C46C: BEBC0180
	v_readlane_b32 s82, v3, 22                                 // 00000000C470: D2890052 00012D03
	s_and_b32 s82, s82, 0xffffff                               // 00000000C478: 8652FF52 00FFFFFF
	s_cmp_lt_u32 s82, s66                                      // 00000000C480: BF0A4252
	s_cselect_b32 s20, s36, s60                                // 00000000C484: 85143C24
	v_readlane_b32 s82, v3, 23                                 // 00000000C488: D2890052 00012F03
	s_and_b32 s82, s82, 0xffffff                               // 00000000C490: 8652FF52 00FFFFFF
	s_cmp_lt_u32 s82, s66                                      // 00000000C498: BF0A4252
	s_cselect_b32 s21, s36, s60                                // 00000000C49C: 85153C24
	s_mov_b64 exec, s[20:21]                                   // 00000000C4A0: BEFE0114
	global_atomic_add_f32 v6, v187, s[8:9] offset:8            // 00000000C4A4: DD348008 0008BB06
	global_atomic_add_f32 v6, v191, s[8:9] offset:264          // 00000000C4AC: DD348108 0008BF06
	s_mov_b64 exec, s[36:37]                                   // 00000000C4B4: BEFE0124
	v_mov_b32_e32 v6, v74                                      // 00000000C4B8: 7E0C034A
	s_mov_b64 s[60:61], 0                                      // 00000000C4BC: BEBC0180
	v_readlane_b32 s82, v3, 24                                 // 00000000C4C0: D2890052 00013103
	s_and_b32 s82, s82, 0xffffff                               // 00000000C4C8: 8652FF52 00FFFFFF
	s_cmp_lt_u32 s82, s66                                      // 00000000C4D0: BF0A4252
	s_cselect_b32 s20, s36, s60                                // 00000000C4D4: 85143C24
	v_readlane_b32 s82, v3, 25                                 // 00000000C4D8: D2890052 00013303
	s_and_b32 s82, s82, 0xffffff                               // 00000000C4E0: 8652FF52 00FFFFFF
	s_cmp_lt_u32 s82, s66                                      // 00000000C4E8: BF0A4252
	s_cselect_b32 s21, s36, s60                                // 00000000C4EC: 85153C24
	s_mov_b64 exec, s[20:21]                                   // 00000000C4F0: BEFE0114
	global_atomic_add_f32 v6, v194, s[8:9] offset:8            // 00000000C4F4: DD348008 0008C206
	global_atomic_add_f32 v6, v198, s[8:9] offset:264          // 00000000C4FC: DD348108 0008C606
	s_mov_b64 exec, s[36:37]                                   // 00000000C504: BEFE0124
	v_mov_b32_e32 v6, v75                                      // 00000000C508: 7E0C034B
	s_mov_b64 s[60:61], 0                                      // 00000000C50C: BEBC0180
	v_readlane_b32 s82, v3, 26                                 // 00000000C510: D2890052 00013503
	s_and_b32 s82, s82, 0xffffff                               // 00000000C518: 8652FF52 00FFFFFF
	s_cmp_lt_u32 s82, s66                                      // 00000000C520: BF0A4252
	s_cselect_b32 s20, s36, s60                                // 00000000C524: 85143C24
	v_readlane_b32 s82, v3, 27                                 // 00000000C528: D2890052 00013703
	s_and_b32 s82, s82, 0xffffff                               // 00000000C530: 8652FF52 00FFFFFF
	s_cmp_lt_u32 s82, s66                                      // 00000000C538: BF0A4252
	s_cselect_b32 s21, s36, s60                                // 00000000C53C: 85153C24
	s_mov_b64 exec, s[20:21]                                   // 00000000C540: BEFE0114
	global_atomic_add_f32 v6, v195, s[8:9] offset:8            // 00000000C544: DD348008 0008C306
	global_atomic_add_f32 v6, v199, s[8:9] offset:264          // 00000000C54C: DD348108 0008C706
	s_mov_b64 exec, s[36:37]                                   // 00000000C554: BEFE0124
	v_mov_b32_e32 v6, v76                                      // 00000000C558: 7E0C034C
	s_mov_b64 s[60:61], 0                                      // 00000000C55C: BEBC0180
	v_readlane_b32 s82, v3, 28                                 // 00000000C560: D2890052 00013903
	s_and_b32 s82, s82, 0xffffff                               // 00000000C568: 8652FF52 00FFFFFF
	s_cmp_lt_u32 s82, s66                                      // 00000000C570: BF0A4252
	s_cselect_b32 s20, s36, s60                                // 00000000C574: 85143C24
	v_readlane_b32 s82, v3, 29                                 // 00000000C578: D2890052 00013B03
	s_and_b32 s82, s82, 0xffffff                               // 00000000C580: 8652FF52 00FFFFFF
	s_cmp_lt_u32 s82, s66                                      // 00000000C588: BF0A4252
	s_cselect_b32 s21, s36, s60                                // 00000000C58C: 85153C24
	s_mov_b64 exec, s[20:21]                                   // 00000000C590: BEFE0114
	global_atomic_add_f32 v6, v202, s[8:9] offset:8            // 00000000C594: DD348008 0008CA06
	global_atomic_add_f32 v6, v206, s[8:9] offset:264          // 00000000C59C: DD348108 0008CE06
	s_mov_b64 exec, s[36:37]                                   // 00000000C5A4: BEFE0124
	v_mov_b32_e32 v6, v77                                      // 00000000C5A8: 7E0C034D
	s_mov_b64 s[60:61], 0                                      // 00000000C5AC: BEBC0180
	v_readlane_b32 s82, v3, 30                                 // 00000000C5B0: D2890052 00013D03
	s_and_b32 s82, s82, 0xffffff                               // 00000000C5B8: 8652FF52 00FFFFFF
	s_cmp_lt_u32 s82, s66                                      // 00000000C5C0: BF0A4252
	s_cselect_b32 s20, s36, s60                                // 00000000C5C4: 85143C24
	v_readlane_b32 s82, v3, 31                                 // 00000000C5C8: D2890052 00013F03
	s_and_b32 s82, s82, 0xffffff                               // 00000000C5D0: 8652FF52 00FFFFFF
	s_cmp_lt_u32 s82, s66                                      // 00000000C5D8: BF0A4252
	s_cselect_b32 s21, s36, s60                                // 00000000C5DC: 85153C24
	s_mov_b64 exec, s[20:21]                                   // 00000000C5E0: BEFE0114
	global_atomic_add_f32 v6, v203, s[8:9] offset:8            // 00000000C5E4: DD348008 0008CB06
	global_atomic_add_f32 v6, v207, s[8:9] offset:264          // 00000000C5EC: DD348108 0008CF06
	s_mov_b64 exec, s[36:37]                                   // 00000000C5F4: BEFE0124
	s_branch label_4A48                                        // 00000000C5F8: BF822346

000000000000c5fc <label_2702>:
	s_waitcnt vmcnt(29) lgkmcnt(0)                             // 00000000C5FC: BF8C407D
	v_mul_f32_dpp v4, v24, v38 row_newbcast:0 row_mask:0xf bank_mask:0xf// 00000000C600: 0A084CFA FF015018
	v_mfma_f32_16x16x32_fp8_fp8 v[8:11], a[128:129], a[0:1], 0 // 00000000C608: D3F30008 1A020180
	buffer_load_dword v25, v22, s[32:35], 0 offen              // 00000000C610: E0501000 80081916
	buffer_load_dwordx4 a[160:163], v78, s[24:27], 0 offen     // 00000000C618: E05C1000 8086A04E
	v_mfma_f32_16x16x32_fp8_fp8 v[8:11], a[130:131], a[2:3], v[8:11]// 00000000C620: D3F30008 1C220582
	v_mfma_f32_16x16x32_fp8_fp8 v[8:11], a[132:133], a[4:5], v[8:11]// 00000000C628: D3F30008 1C220984
	v_mfma_f32_16x16x32_fp8_fp8 v[8:11], a[134:135], a[6:7], v[8:11]// 00000000C630: D3F30008 1C220D86
	v_mfma_f32_16x16x32_fp8_fp8 v[12:15], a[136:137], a[0:1], 0// 00000000C638: D3F3000C 1A020188
	buffer_load_dwordx4 a[164:167], v78, s[24:27], 0 offen offset:1024// 00000000C640: E05C1400 8086A44E
	v_mfma_f32_16x16x32_fp8_fp8 v[12:15], a[138:139], a[2:3], v[12:15]// 00000000C648: D3F3000C 1C32058A
	v_mfma_f32_16x16x32_fp8_fp8 v[12:15], a[140:141], a[4:5], v[12:15]// 00000000C650: D3F3000C 1C32098C
	v_mfma_f32_16x16x32_fp8_fp8 v[12:15], a[142:143], a[6:7], v[12:15]// 00000000C658: D3F3000C 1C320D8E
	v_fma_f32 v80, v8, v4, v80                                 // 00000000C660: D1CB0050 05420908
	v_fma_f32 v81, v9, v4, v81                                 // 00000000C668: D1CB0051 05460909
	v_fma_f32 v82, v10, v4, v82                                // 00000000C670: D1CB0052 054A090A
	v_fma_f32 v83, v11, v4, v83                                // 00000000C678: D1CB0053 054E090B
	v_mul_f32_dpp v6, v24, v39 row_newbcast:0 row_mask:0xf bank_mask:0xf// 00000000C680: 0A0C4EFA FF015018
	v_mfma_f32_16x16x32_fp8_fp8 v[8:11], a[128:129], a[8:9], 0 // 00000000C688: D3F30008 1A021180
	buffer_load_dwordx4 a[168:171], v79, s[24:27], 0 offen     // 00000000C690: E05C1000 8086A84F
	v_mfma_f32_16x16x32_fp8_fp8 v[8:11], a[130:131], a[10:11], v[8:11]// 00000000C698: D3F30008 1C221582
	v_mfma_f32_16x16x32_fp8_fp8 v[8:11], a[132:133], a[12:13], v[8:11]// 00000000C6A0: D3F30008 1C221984
	v_mfma_f32_16x16x32_fp8_fp8 v[8:11], a[134:135], a[14:15], v[8:11]// 00000000C6A8: D3F30008 1C221D86
	v_fma_f32 v112, v12, v4, v112                              // 00000000C6B0: D1CB0070 05C2090C
	v_fma_f32 v113, v13, v4, v113                              // 00000000C6B8: D1CB0071 05C6090D
	v_fma_f32 v114, v14, v4, v114                              // 00000000C6C0: D1CB0072 05CA090E
	v_fma_f32 v115, v15, v4, v115                              // 00000000C6C8: D1CB0073 05CE090F
	v_mfma_f32_16x16x32_fp8_fp8 v[12:15], a[136:137], a[8:9], 0// 00000000C6D0: D3F3000C 1A021188
	buffer_load_dwordx4 a[172:175], v79, s[24:27], 0 offen offset:1024// 00000000C6D8: E05C1400 8086AC4F
	buffer_load_dword v62, s[20:23], 0 offen lds               // 00000000C6E0: E0511000 8005003E
	s_add_u32 m0, 0x100, s50                                   // 00000000C6E8: 807C32FF 00000100
	v_mfma_f32_16x16x32_fp8_fp8 v[12:15], a[138:139], a[10:11], v[12:15]// 00000000C6F0: D3F3000C 1C32158A
	v_mfma_f32_16x16x32_fp8_fp8 v[12:15], a[140:141], a[12:13], v[12:15]// 00000000C6F8: D3F3000C 1C32198C
	buffer_load_dword v63, s[20:23], 0 offen lds               // 00000000C700: E0511000 8005003F
	s_add_u32 m0, 0x200, s50                                   // 00000000C708: 807C32FF 00000200
	v_mfma_f32_16x16x32_fp8_fp8 v[12:15], a[142:143], a[14:15], v[12:15]// 00000000C710: D3F3000C 1C321D8E
	v_fma_f32 v84, v8, v6, v84                                 // 00000000C718: D1CB0054 05520D08
	v_fma_f32 v85, v9, v6, v85                                 // 00000000C720: D1CB0055 05560D09
	v_fma_f32 v86, v10, v6, v86                                // 00000000C728: D1CB0056 055A0D0A
	v_fma_f32 v87, v11, v6, v87                                // 00000000C730: D1CB0057 055E0D0B
	v_mul_f32_dpp v4, v24, v40 row_newbcast:0 row_mask:0xf bank_mask:0xf// 00000000C738: 0A0850FA FF015018
	v_mfma_f32_16x16x32_fp8_fp8 v[8:11], a[128:129], a[16:17], 0// 00000000C740: D3F30008 1A022180
	buffer_load_dword v64, s[20:23], 0 offen lds               // 00000000C748: E0511000 80050040
	s_add_u32 m0, 0x300, s50                                   // 00000000C750: 807C32FF 00000300
	v_mfma_f32_16x16x32_fp8_fp8 v[8:11], a[130:131], a[18:19], v[8:11]// 00000000C758: D3F30008 1C222582
	v_mfma_f32_16x16x32_fp8_fp8 v[8:11], a[132:133], a[20:21], v[8:11]// 00000000C760: D3F30008 1C222984
	buffer_load_dword v65, s[20:23], 0 offen lds               // 00000000C768: E0511000 80050041
	s_add_u32 m0, 0x400, s50                                   // 00000000C770: 807C32FF 00000400
	v_mfma_f32_16x16x32_fp8_fp8 v[8:11], a[134:135], a[22:23], v[8:11]// 00000000C778: D3F30008 1C222D86
	v_fma_f32 v116, v12, v6, v116                              // 00000000C780: D1CB0074 05D20D0C
	v_fma_f32 v117, v13, v6, v117                              // 00000000C788: D1CB0075 05D60D0D
	v_fma_f32 v118, v14, v6, v118                              // 00000000C790: D1CB0076 05DA0D0E
	v_fma_f32 v119, v15, v6, v119                              // 00000000C798: D1CB0077 05DE0D0F
	v_mfma_f32_16x16x32_fp8_fp8 v[12:15], a[136:137], a[16:17], 0// 00000000C7A0: D3F3000C 1A022188
	buffer_load_dword v66, s[20:23], 0 offen lds               // 00000000C7A8: E0511000 80050042
	s_add_u32 m0, 0x500, s50                                   // 00000000C7B0: 807C32FF 00000500
	v_mfma_f32_16x16x32_fp8_fp8 v[12:15], a[138:139], a[18:19], v[12:15]// 00000000C7B8: D3F3000C 1C32258A
	v_mfma_f32_16x16x32_fp8_fp8 v[12:15], a[140:141], a[20:21], v[12:15]// 00000000C7C0: D3F3000C 1C32298C
	buffer_load_dword v67, s[20:23], 0 offen lds               // 00000000C7C8: E0511000 80050043
	s_add_u32 m0, 0x600, s50                                   // 00000000C7D0: 807C32FF 00000600
	v_mfma_f32_16x16x32_fp8_fp8 v[12:15], a[142:143], a[22:23], v[12:15]// 00000000C7D8: D3F3000C 1C322D8E
	v_fma_f32 v88, v8, v4, v88                                 // 00000000C7E0: D1CB0058 05620908
	v_fma_f32 v89, v9, v4, v89                                 // 00000000C7E8: D1CB0059 05660909
	v_fma_f32 v90, v10, v4, v90                                // 00000000C7F0: D1CB005A 056A090A
	v_fma_f32 v91, v11, v4, v91                                // 00000000C7F8: D1CB005B 056E090B
	v_mul_f32_dpp v6, v24, v41 row_newbcast:0 row_mask:0xf bank_mask:0xf// 00000000C800: 0A0C52FA FF015018
	v_mfma_f32_16x16x32_fp8_fp8 v[8:11], a[128:129], a[24:25], 0// 00000000C808: D3F30008 1A023180
	buffer_load_dword v68, s[20:23], 0 offen lds               // 00000000C810: E0511000 80050044
	s_add_u32 m0, 0x700, s50                                   // 00000000C818: 807C32FF 00000700
	v_mfma_f32_16x16x32_fp8_fp8 v[8:11], a[130:131], a[26:27], v[8:11]// 00000000C820: D3F30008 1C223582
	v_mfma_f32_16x16x32_fp8_fp8 v[8:11], a[132:133], a[28:29], v[8:11]// 00000000C828: D3F30008 1C223984
	buffer_load_dword v69, s[20:23], 0 offen lds               // 00000000C830: E0511000 80050045
	s_add_u32 m0, 0x800, s50                                   // 00000000C838: 807C32FF 00000800
	v_mfma_f32_16x16x32_fp8_fp8 v[8:11], a[134:135], a[30:31], v[8:11]// 00000000C840: D3F30008 1C223D86
	v_fma_f32 v120, v12, v4, v120                              // 00000000C848: D1CB0078 05E2090C
	v_fma_f32 v121, v13, v4, v121                              // 00000000C850: D1CB0079 05E6090D
	v_fma_f32 v122, v14, v4, v122                              // 00000000C858: D1CB007A 05EA090E
	v_fma_f32 v123, v15, v4, v123                              // 00000000C860: D1CB007B 05EE090F
	v_mfma_f32_16x16x32_fp8_fp8 v[12:15], a[136:137], a[24:25], 0// 00000000C868: D3F3000C 1A023188
	buffer_load_dword v70, s[20:23], 0 offen lds               // 00000000C870: E0511000 80050046
	s_add_u32 m0, 0x900, s50                                   // 00000000C878: 807C32FF 00000900
	v_mfma_f32_16x16x32_fp8_fp8 v[12:15], a[138:139], a[26:27], v[12:15]// 00000000C880: D3F3000C 1C32358A
	v_mfma_f32_16x16x32_fp8_fp8 v[12:15], a[140:141], a[28:29], v[12:15]// 00000000C888: D3F3000C 1C32398C
	buffer_load_dword v71, s[20:23], 0 offen lds               // 00000000C890: E0511000 80050047
	s_add_u32 m0, 0xa00, s50                                   // 00000000C898: 807C32FF 00000A00
	v_mfma_f32_16x16x32_fp8_fp8 v[12:15], a[142:143], a[30:31], v[12:15]// 00000000C8A0: D3F3000C 1C323D8E
	v_fma_f32 v92, v8, v6, v92                                 // 00000000C8A8: D1CB005C 05720D08
	v_fma_f32 v93, v9, v6, v93                                 // 00000000C8B0: D1CB005D 05760D09
	v_fma_f32 v94, v10, v6, v94                                // 00000000C8B8: D1CB005E 057A0D0A
	v_fma_f32 v95, v11, v6, v95                                // 00000000C8C0: D1CB005F 057E0D0B
	v_mul_f32_dpp v4, v24, v42 row_newbcast:0 row_mask:0xf bank_mask:0xf// 00000000C8C8: 0A0854FA FF015018
	v_mfma_f32_16x16x32_fp8_fp8 v[8:11], a[128:129], a[32:33], 0// 00000000C8D0: D3F30008 1A024180
	buffer_load_dword v72, s[20:23], 0 offen lds               // 00000000C8D8: E0511000 80050048
	s_add_u32 m0, 0xb00, s50                                   // 00000000C8E0: 807C32FF 00000B00
	v_mfma_f32_16x16x32_fp8_fp8 v[8:11], a[130:131], a[34:35], v[8:11]// 00000000C8E8: D3F30008 1C224582
	v_mfma_f32_16x16x32_fp8_fp8 v[8:11], a[132:133], a[36:37], v[8:11]// 00000000C8F0: D3F30008 1C224984
	buffer_load_dword v73, s[20:23], 0 offen lds               // 00000000C8F8: E0511000 80050049
	s_add_u32 m0, 0xc00, s50                                   // 00000000C900: 807C32FF 00000C00
	v_mfma_f32_16x16x32_fp8_fp8 v[8:11], a[134:135], a[38:39], v[8:11]// 00000000C908: D3F30008 1C224D86
	v_fma_f32 v124, v12, v6, v124                              // 00000000C910: D1CB007C 05F20D0C
	v_fma_f32 v125, v13, v6, v125                              // 00000000C918: D1CB007D 05F60D0D
	v_fma_f32 v126, v14, v6, v126                              // 00000000C920: D1CB007E 05FA0D0E
	v_fma_f32 v127, v15, v6, v127                              // 00000000C928: D1CB007F 05FE0D0F
	v_mfma_f32_16x16x32_fp8_fp8 v[12:15], a[136:137], a[32:33], 0// 00000000C930: D3F3000C 1A024188
	buffer_load_dword v74, s[20:23], 0 offen lds               // 00000000C938: E0511000 8005004A
	s_add_u32 m0, 0xd00, s50                                   // 00000000C940: 807C32FF 00000D00
	v_mfma_f32_16x16x32_fp8_fp8 v[12:15], a[138:139], a[34:35], v[12:15]// 00000000C948: D3F3000C 1C32458A
	v_mfma_f32_16x16x32_fp8_fp8 v[12:15], a[140:141], a[36:37], v[12:15]// 00000000C950: D3F3000C 1C32498C
	buffer_load_dword v75, s[20:23], 0 offen lds               // 00000000C958: E0511000 8005004B
	s_add_u32 m0, 0xe00, s50                                   // 00000000C960: 807C32FF 00000E00
	v_mfma_f32_16x16x32_fp8_fp8 v[12:15], a[142:143], a[38:39], v[12:15]// 00000000C968: D3F3000C 1C324D8E
	v_fma_f32 v96, v8, v4, v96                                 // 00000000C970: D1CB0060 05820908
	v_fma_f32 v97, v9, v4, v97                                 // 00000000C978: D1CB0061 05860909
	v_fma_f32 v98, v10, v4, v98                                // 00000000C980: D1CB0062 058A090A
	v_fma_f32 v99, v11, v4, v99                                // 00000000C988: D1CB0063 058E090B
	v_mul_f32_dpp v6, v24, v43 row_newbcast:0 row_mask:0xf bank_mask:0xf// 00000000C990: 0A0C56FA FF015018
	v_mfma_f32_16x16x32_fp8_fp8 v[8:11], a[128:129], a[40:41], 0// 00000000C998: D3F30008 1A025180
	buffer_load_dword v76, s[20:23], 0 offen lds               // 00000000C9A0: E0511000 8005004C
	s_add_u32 m0, 0xf00, s50                                   // 00000000C9A8: 807C32FF 00000F00
	v_mfma_f32_16x16x32_fp8_fp8 v[8:11], a[130:131], a[42:43], v[8:11]// 00000000C9B0: D3F30008 1C225582
	v_mfma_f32_16x16x32_fp8_fp8 v[8:11], a[132:133], a[44:45], v[8:11]// 00000000C9B8: D3F30008 1C225984
	buffer_load_dword v77, s[20:23], 0 offen lds               // 00000000C9C0: E0511000 8005004D
	s_add_u32 m0, 0, s48                                       // 00000000C9C8: 807C3080
	v_mfma_f32_16x16x32_fp8_fp8 v[8:11], a[134:135], a[46:47], v[8:11]// 00000000C9CC: D3F30008 1C225D86
	v_fma_f32 v128, v12, v4, v128                              // 00000000C9D4: D1CB0080 0602090C
	v_fma_f32 v129, v13, v4, v129                              // 00000000C9DC: D1CB0081 0606090D
	v_fma_f32 v130, v14, v4, v130                              // 00000000C9E4: D1CB0082 060A090E
	v_fma_f32 v131, v15, v4, v131                              // 00000000C9EC: D1CB0083 060E090F
	v_mfma_f32_16x16x32_fp8_fp8 v[12:15], a[136:137], a[40:41], 0// 00000000C9F4: D3F3000C 1A025188
	buffer_load_dword v54, v30, s[28:31], 0 offen              // 00000000C9FC: E0501000 8007361E
	v_mfma_f32_16x16x32_fp8_fp8 v[12:15], a[138:139], a[42:43], v[12:15]// 00000000CA04: D3F3000C 1C32558A
	v_mfma_f32_16x16x32_fp8_fp8 v[12:15], a[140:141], a[44:45], v[12:15]// 00000000CA0C: D3F3000C 1C32598C
	buffer_load_dword v55, v31, s[28:31], 0 offen              // 00000000CA14: E0501000 8007371F
	v_mfma_f32_16x16x32_fp8_fp8 v[12:15], a[142:143], a[46:47], v[12:15]// 00000000CA1C: D3F3000C 1C325D8E
	v_fma_f32 v100, v8, v6, v100                               // 00000000CA24: D1CB0064 05920D08
	v_fma_f32 v101, v9, v6, v101                               // 00000000CA2C: D1CB0065 05960D09
	v_fma_f32 v102, v10, v6, v102                              // 00000000CA34: D1CB0066 059A0D0A
	v_fma_f32 v103, v11, v6, v103                              // 00000000CA3C: D1CB0067 059E0D0B
	v_mul_f32_dpp v4, v24, v44 row_newbcast:0 row_mask:0xf bank_mask:0xf// 00000000CA44: 0A0858FA FF015018
	v_mfma_f32_16x16x32_fp8_fp8 v[8:11], a[128:129], a[48:49], 0// 00000000CA4C: D3F30008 1A026180
	buffer_load_dword v56, v32, s[28:31], 0 offen              // 00000000CA54: E0501000 80073820
	v_mfma_f32_16x16x32_fp8_fp8 v[8:11], a[130:131], a[50:51], v[8:11]// 00000000CA5C: D3F30008 1C226582
	v_mfma_f32_16x16x32_fp8_fp8 v[8:11], a[132:133], a[52:53], v[8:11]// 00000000CA64: D3F30008 1C226984
	buffer_load_dword v57, v33, s[28:31], 0 offen              // 00000000CA6C: E0501000 80073921
	v_mfma_f32_16x16x32_fp8_fp8 v[8:11], a[134:135], a[54:55], v[8:11]// 00000000CA74: D3F30008 1C226D86
	v_fma_f32 v132, v12, v6, v132                              // 00000000CA7C: D1CB0084 06120D0C
	v_fma_f32 v133, v13, v6, v133                              // 00000000CA84: D1CB0085 06160D0D
	v_fma_f32 v134, v14, v6, v134                              // 00000000CA8C: D1CB0086 061A0D0E
	v_fma_f32 v135, v15, v6, v135                              // 00000000CA94: D1CB0087 061E0D0F
	v_mfma_f32_16x16x32_fp8_fp8 v[12:15], a[136:137], a[48:49], 0// 00000000CA9C: D3F3000C 1A026188
	buffer_load_dword v58, v34, s[28:31], 0 offen              // 00000000CAA4: E0501000 80073A22
	v_mfma_f32_16x16x32_fp8_fp8 v[12:15], a[138:139], a[50:51], v[12:15]// 00000000CAAC: D3F3000C 1C32658A
	v_mfma_f32_16x16x32_fp8_fp8 v[12:15], a[140:141], a[52:53], v[12:15]// 00000000CAB4: D3F3000C 1C32698C
	buffer_load_dword v59, v35, s[28:31], 0 offen              // 00000000CABC: E0501000 80073B23
	v_mfma_f32_16x16x32_fp8_fp8 v[12:15], a[142:143], a[54:55], v[12:15]// 00000000CAC4: D3F3000C 1C326D8E
	v_fma_f32 v104, v8, v4, v104                               // 00000000CACC: D1CB0068 05A20908
	v_fma_f32 v105, v9, v4, v105                               // 00000000CAD4: D1CB0069 05A60909
	v_fma_f32 v106, v10, v4, v106                              // 00000000CADC: D1CB006A 05AA090A
	v_fma_f32 v107, v11, v4, v107                              // 00000000CAE4: D1CB006B 05AE090B
	v_mul_f32_dpp v6, v24, v45 row_newbcast:0 row_mask:0xf bank_mask:0xf// 00000000CAEC: 0A0C5AFA FF015018
	v_mfma_f32_16x16x32_fp8_fp8 v[8:11], a[128:129], a[56:57], 0// 00000000CAF4: D3F30008 1A027180
	buffer_load_dword v60, v36, s[28:31], 0 offen              // 00000000CAFC: E0501000 80073C24
	v_mfma_f32_16x16x32_fp8_fp8 v[8:11], a[130:131], a[58:59], v[8:11]// 00000000CB04: D3F30008 1C227582
	v_mfma_f32_16x16x32_fp8_fp8 v[8:11], a[132:133], a[60:61], v[8:11]// 00000000CB0C: D3F30008 1C227984
	buffer_load_dword v61, v37, s[28:31], 0 offen              // 00000000CB14: E0501000 80073D25
	v_mfma_f32_16x16x32_fp8_fp8 v[8:11], a[134:135], a[62:63], v[8:11]// 00000000CB1C: D3F30008 1C227D86
	v_fma_f32 v136, v12, v4, v136                              // 00000000CB24: D1CB0088 0622090C
	v_fma_f32 v137, v13, v4, v137                              // 00000000CB2C: D1CB0089 0626090D
	v_fma_f32 v138, v14, v4, v138                              // 00000000CB34: D1CB008A 062A090E
	v_fma_f32 v139, v15, v4, v139                              // 00000000CB3C: D1CB008B 062E090F
	v_mfma_f32_16x16x32_fp8_fp8 v[12:15], a[136:137], a[56:57], 0// 00000000CB44: D3F3000C 1A027188
	v_mfma_f32_16x16x32_fp8_fp8 v[12:15], a[138:139], a[58:59], v[12:15]// 00000000CB4C: D3F3000C 1C32758A
	v_mfma_f32_16x16x32_fp8_fp8 v[12:15], a[140:141], a[60:61], v[12:15]// 00000000CB54: D3F3000C 1C32798C
	v_mfma_f32_16x16x32_fp8_fp8 v[12:15], a[142:143], a[62:63], v[12:15]// 00000000CB5C: D3F3000C 1C327D8E
	v_fma_f32 v108, v8, v6, v108                               // 00000000CB64: D1CB006C 05B20D08
	v_fma_f32 v109, v9, v6, v109                               // 00000000CB6C: D1CB006D 05B60D09
	v_fma_f32 v110, v10, v6, v110                              // 00000000CB74: D1CB006E 05BA0D0A
	v_fma_f32 v111, v11, v6, v111                              // 00000000CB7C: D1CB006F 05BE0D0B
	v_fma_f32 v140, v12, v6, v140                              // 00000000CB84: D1CB008C 06320D0C
	v_fma_f32 v141, v13, v6, v141                              // 00000000CB8C: D1CB008D 06360D0D
	v_fma_f32 v142, v14, v6, v142                              // 00000000CB94: D1CB008E 063A0D0E
	v_fma_f32 v143, v15, v6, v143                              // 00000000CB9C: D1CB008F 063E0D0F
	s_waitcnt vmcnt(29)                                        // 00000000CBA4: BF8C4F7D
	s_barrier                                                  // 00000000CBA8: BF8A0000
	v_mul_f32_dpp v4, v27, v38 row_newbcast:0 row_mask:0xf bank_mask:0xf// 00000000CBAC: 0A084CFA FF01501B
	v_mfma_f32_16x16x32_fp8_fp8 v[8:11], a[144:145], a[0:1], 0 // 00000000CBB4: D3F30008 1A020190
	buffer_load_dword v28, v23, s[32:35], 0 offen              // 00000000CBBC: E0501000 80081C17
	buffer_load_dwordx4 a[128:131], v78, s[84:87], 0 offen     // 00000000CBC4: E05C1000 8095804E
	v_mfma_f32_16x16x32_fp8_fp8 v[8:11], a[146:147], a[2:3], v[8:11]// 00000000CBCC: D3F30008 1C220592
	v_mfma_f32_16x16x32_fp8_fp8 v[8:11], a[148:149], a[4:5], v[8:11]// 00000000CBD4: D3F30008 1C220994
	ds_read_b128 a[64:67], v2 offset:16512                     // 00000000CBDC: DBFE4080 40000002
	ds_read_b128 a[68:71], v2 offset:16576                     // 00000000CBE4: DBFE40C0 44000002
	v_mfma_f32_16x16x32_fp8_fp8 v[8:11], a[150:151], a[6:7], v[8:11]// 00000000CBEC: D3F30008 1C220D96
	v_mfma_f32_16x16x32_fp8_fp8 v[12:15], a[152:153], a[0:1], 0// 00000000CBF4: D3F3000C 1A020198
	buffer_load_dwordx4 a[132:135], v78, s[84:87], 0 offen offset:1024// 00000000CBFC: E05C1400 8095844E
	v_mfma_f32_16x16x32_fp8_fp8 v[12:15], a[154:155], a[2:3], v[12:15]// 00000000CC04: D3F3000C 1C32059A
	v_mfma_f32_16x16x32_fp8_fp8 v[12:15], a[156:157], a[4:5], v[12:15]// 00000000CC0C: D3F3000C 1C32099C
	ds_read_b128 a[72:75], v2 offset:17024                     // 00000000CC14: DBFE4280 48000002
	ds_read_b128 a[76:79], v2 offset:17088                     // 00000000CC1C: DBFE42C0 4C000002
	v_mfma_f32_16x16x32_fp8_fp8 v[12:15], a[158:159], a[6:7], v[12:15]// 00000000CC24: D3F3000C 1C320D9E
	v_fma_f32 v144, v8, v4, v144                               // 00000000CC2C: D1CB0090 06420908
	v_fma_f32 v145, v9, v4, v145                               // 00000000CC34: D1CB0091 06460909
	v_fma_f32 v146, v10, v4, v146                              // 00000000CC3C: D1CB0092 064A090A
	v_fma_f32 v147, v11, v4, v147                              // 00000000CC44: D1CB0093 064E090B
	v_mul_f32_dpp v6, v27, v39 row_newbcast:0 row_mask:0xf bank_mask:0xf// 00000000CC4C: 0A0C4EFA FF01501B
	v_mfma_f32_16x16x32_fp8_fp8 v[8:11], a[144:145], a[8:9], 0 // 00000000CC54: D3F30008 1A021190
	buffer_load_dwordx4 a[136:139], v79, s[84:87], 0 offen     // 00000000CC5C: E05C1000 8095884F
	v_mfma_f32_16x16x32_fp8_fp8 v[8:11], a[146:147], a[10:11], v[8:11]// 00000000CC64: D3F30008 1C221592
	v_mfma_f32_16x16x32_fp8_fp8 v[8:11], a[148:149], a[12:13], v[8:11]// 00000000CC6C: D3F30008 1C221994
	ds_read_b128 a[80:83], v2 offset:17536                     // 00000000CC74: DBFE4480 50000002
	ds_read_b128 a[84:87], v2 offset:17600                     // 00000000CC7C: DBFE44C0 54000002
	v_mfma_f32_16x16x32_fp8_fp8 v[8:11], a[150:151], a[14:15], v[8:11]// 00000000CC84: D3F30008 1C221D96
	v_fma_f32 v176, v12, v4, v176                              // 00000000CC8C: D1CB00B0 06C2090C
	v_fma_f32 v177, v13, v4, v177                              // 00000000CC94: D1CB00B1 06C6090D
	v_fma_f32 v178, v14, v4, v178                              // 00000000CC9C: D1CB00B2 06CA090E
	v_fma_f32 v179, v15, v4, v179                              // 00000000CCA4: D1CB00B3 06CE090F
	v_mfma_f32_16x16x32_fp8_fp8 v[12:15], a[152:153], a[8:9], 0// 00000000CCAC: D3F3000C 1A021198
	buffer_load_dwordx4 a[140:143], v79, s[84:87], 0 offen offset:1024// 00000000CCB4: E05C1400 80958C4F
	v_mfma_f32_16x16x32_fp8_fp8 v[12:15], a[154:155], a[10:11], v[12:15]// 00000000CCBC: D3F3000C 1C32159A
	v_mfma_f32_16x16x32_fp8_fp8 v[12:15], a[156:157], a[12:13], v[12:15]// 00000000CCC4: D3F3000C 1C32199C
	ds_read_b128 a[88:91], v2 offset:18048                     // 00000000CCCC: DBFE4680 58000002
	ds_read_b128 a[92:95], v2 offset:18112                     // 00000000CCD4: DBFE46C0 5C000002
	v_mfma_f32_16x16x32_fp8_fp8 v[12:15], a[158:159], a[14:15], v[12:15]// 00000000CCDC: D3F3000C 1C321D9E
	v_fma_f32 v148, v8, v6, v148                               // 00000000CCE4: D1CB0094 06520D08
	v_fma_f32 v149, v9, v6, v149                               // 00000000CCEC: D1CB0095 06560D09
	v_fma_f32 v150, v10, v6, v150                              // 00000000CCF4: D1CB0096 065A0D0A
	v_fma_f32 v151, v11, v6, v151                              // 00000000CCFC: D1CB0097 065E0D0B
	v_mul_f32_dpp v4, v27, v40 row_newbcast:0 row_mask:0xf bank_mask:0xf// 00000000CD04: 0A0850FA FF01501B
	v_mfma_f32_16x16x32_fp8_fp8 v[8:11], a[144:145], a[16:17], 0// 00000000CD0C: D3F30008 1A022190
	v_mfma_f32_16x16x32_fp8_fp8 v[8:11], a[146:147], a[18:19], v[8:11]// 00000000CD14: D3F30008 1C222592
	v_mfma_f32_16x16x32_fp8_fp8 v[8:11], a[148:149], a[20:21], v[8:11]// 00000000CD1C: D3F30008 1C222994
	ds_read_b128 a[96:99], v2 offset:18560                     // 00000000CD24: DBFE4880 60000002
	ds_read_b128 a[100:103], v2 offset:18624                   // 00000000CD2C: DBFE48C0 64000002
	v_mfma_f32_16x16x32_fp8_fp8 v[8:11], a[150:151], a[22:23], v[8:11]// 00000000CD34: D3F30008 1C222D96
	v_fma_f32 v180, v12, v6, v180                              // 00000000CD3C: D1CB00B4 06D20D0C
	v_fma_f32 v181, v13, v6, v181                              // 00000000CD44: D1CB00B5 06D60D0D
	v_fma_f32 v182, v14, v6, v182                              // 00000000CD4C: D1CB00B6 06DA0D0E
	v_fma_f32 v183, v15, v6, v183                              // 00000000CD54: D1CB00B7 06DE0D0F
	v_mfma_f32_16x16x32_fp8_fp8 v[12:15], a[152:153], a[16:17], 0// 00000000CD5C: D3F3000C 1A022198
	v_mfma_f32_16x16x32_fp8_fp8 v[12:15], a[154:155], a[18:19], v[12:15]// 00000000CD64: D3F3000C 1C32259A
	v_mfma_f32_16x16x32_fp8_fp8 v[12:15], a[156:157], a[20:21], v[12:15]// 00000000CD6C: D3F3000C 1C32299C
	ds_read_b128 a[104:107], v2 offset:19072                   // 00000000CD74: DBFE4A80 68000002
	ds_read_b128 a[108:111], v2 offset:19136                   // 00000000CD7C: DBFE4AC0 6C000002
	v_mfma_f32_16x16x32_fp8_fp8 v[12:15], a[158:159], a[22:23], v[12:15]// 00000000CD84: D3F3000C 1C322D9E
	v_fma_f32 v152, v8, v4, v152                               // 00000000CD8C: D1CB0098 06620908
	v_fma_f32 v153, v9, v4, v153                               // 00000000CD94: D1CB0099 06660909
	v_fma_f32 v154, v10, v4, v154                              // 00000000CD9C: D1CB009A 066A090A
	v_fma_f32 v155, v11, v4, v155                              // 00000000CDA4: D1CB009B 066E090B
	v_mul_f32_dpp v6, v27, v41 row_newbcast:0 row_mask:0xf bank_mask:0xf// 00000000CDAC: 0A0C52FA FF01501B
	v_mfma_f32_16x16x32_fp8_fp8 v[8:11], a[144:145], a[24:25], 0// 00000000CDB4: D3F30008 1A023190
	v_mfma_f32_16x16x32_fp8_fp8 v[8:11], a[146:147], a[26:27], v[8:11]// 00000000CDBC: D3F30008 1C223592
	v_mfma_f32_16x16x32_fp8_fp8 v[8:11], a[148:149], a[28:29], v[8:11]// 00000000CDC4: D3F30008 1C223994
	ds_read_b128 a[112:115], v2 offset:19584                   // 00000000CDCC: DBFE4C80 70000002
	ds_read_b128 a[116:119], v2 offset:19648                   // 00000000CDD4: DBFE4CC0 74000002
	v_mfma_f32_16x16x32_fp8_fp8 v[8:11], a[150:151], a[30:31], v[8:11]// 00000000CDDC: D3F30008 1C223D96
	v_fma_f32 v184, v12, v4, v184                              // 00000000CDE4: D1CB00B8 06E2090C
	v_fma_f32 v185, v13, v4, v185                              // 00000000CDEC: D1CB00B9 06E6090D
	v_fma_f32 v186, v14, v4, v186                              // 00000000CDF4: D1CB00BA 06EA090E
	v_fma_f32 v187, v15, v4, v187                              // 00000000CDFC: D1CB00BB 06EE090F
	v_mfma_f32_16x16x32_fp8_fp8 v[12:15], a[152:153], a[24:25], 0// 00000000CE04: D3F3000C 1A023198
	v_mfma_f32_16x16x32_fp8_fp8 v[12:15], a[154:155], a[26:27], v[12:15]// 00000000CE0C: D3F3000C 1C32359A
	v_mfma_f32_16x16x32_fp8_fp8 v[12:15], a[156:157], a[28:29], v[12:15]// 00000000CE14: D3F3000C 1C32399C
	ds_read_b128 a[120:123], v2 offset:20096                   // 00000000CE1C: DBFE4E80 78000002
	ds_read_b128 a[124:127], v2 offset:20160                   // 00000000CE24: DBFE4EC0 7C000002
	v_mfma_f32_16x16x32_fp8_fp8 v[12:15], a[158:159], a[30:31], v[12:15]// 00000000CE2C: D3F3000C 1C323D9E
	v_fma_f32 v156, v8, v6, v156                               // 00000000CE34: D1CB009C 06720D08
	v_fma_f32 v157, v9, v6, v157                               // 00000000CE3C: D1CB009D 06760D09
	v_fma_f32 v158, v10, v6, v158                              // 00000000CE44: D1CB009E 067A0D0A
	v_fma_f32 v159, v11, v6, v159                              // 00000000CE4C: D1CB009F 067E0D0B
	v_mul_f32_dpp v4, v27, v42 row_newbcast:0 row_mask:0xf bank_mask:0xf// 00000000CE54: 0A0854FA FF01501B
	v_mfma_f32_16x16x32_fp8_fp8 v[8:11], a[144:145], a[32:33], 0// 00000000CE5C: D3F30008 1A024190
	v_mfma_f32_16x16x32_fp8_fp8 v[8:11], a[146:147], a[34:35], v[8:11]// 00000000CE64: D3F30008 1C224592
	v_mfma_f32_16x16x32_fp8_fp8 v[8:11], a[148:149], a[36:37], v[8:11]// 00000000CE6C: D3F30008 1C224994
	v_mfma_f32_16x16x32_fp8_fp8 v[8:11], a[150:151], a[38:39], v[8:11]// 00000000CE74: D3F30008 1C224D96
	v_fma_f32 v188, v12, v6, v188                              // 00000000CE7C: D1CB00BC 06F20D0C
	v_fma_f32 v189, v13, v6, v189                              // 00000000CE84: D1CB00BD 06F60D0D
	v_fma_f32 v190, v14, v6, v190                              // 00000000CE8C: D1CB00BE 06FA0D0E
	v_fma_f32 v191, v15, v6, v191                              // 00000000CE94: D1CB00BF 06FE0D0F
	v_mfma_f32_16x16x32_fp8_fp8 v[12:15], a[152:153], a[32:33], 0// 00000000CE9C: D3F3000C 1A024198
	v_mfma_f32_16x16x32_fp8_fp8 v[12:15], a[154:155], a[34:35], v[12:15]// 00000000CEA4: D3F3000C 1C32459A
	v_mfma_f32_16x16x32_fp8_fp8 v[12:15], a[156:157], a[36:37], v[12:15]// 00000000CEAC: D3F3000C 1C32499C
	v_mfma_f32_16x16x32_fp8_fp8 v[12:15], a[158:159], a[38:39], v[12:15]// 00000000CEB4: D3F3000C 1C324D9E
	v_fma_f32 v160, v8, v4, v160                               // 00000000CEBC: D1CB00A0 06820908
	v_fma_f32 v161, v9, v4, v161                               // 00000000CEC4: D1CB00A1 06860909
	v_fma_f32 v162, v10, v4, v162                              // 00000000CECC: D1CB00A2 068A090A
	v_fma_f32 v163, v11, v4, v163                              // 00000000CED4: D1CB00A3 068E090B
	v_mul_f32_dpp v6, v27, v43 row_newbcast:0 row_mask:0xf bank_mask:0xf// 00000000CEDC: 0A0C56FA FF01501B
	v_mfma_f32_16x16x32_fp8_fp8 v[8:11], a[144:145], a[40:41], 0// 00000000CEE4: D3F30008 1A025190
	v_mfma_f32_16x16x32_fp8_fp8 v[8:11], a[146:147], a[42:43], v[8:11]// 00000000CEEC: D3F30008 1C225592
	v_mfma_f32_16x16x32_fp8_fp8 v[8:11], a[148:149], a[44:45], v[8:11]// 00000000CEF4: D3F30008 1C225994
	v_mfma_f32_16x16x32_fp8_fp8 v[8:11], a[150:151], a[46:47], v[8:11]// 00000000CEFC: D3F30008 1C225D96
	v_fma_f32 v192, v12, v4, v192                              // 00000000CF04: D1CB00C0 0702090C
	v_fma_f32 v193, v13, v4, v193                              // 00000000CF0C: D1CB00C1 0706090D
	v_fma_f32 v194, v14, v4, v194                              // 00000000CF14: D1CB00C2 070A090E
	v_fma_f32 v195, v15, v4, v195                              // 00000000CF1C: D1CB00C3 070E090F
	v_mfma_f32_16x16x32_fp8_fp8 v[12:15], a[152:153], a[40:41], 0// 00000000CF24: D3F3000C 1A025198
	v_mfma_f32_16x16x32_fp8_fp8 v[12:15], a[154:155], a[42:43], v[12:15]// 00000000CF2C: D3F3000C 1C32559A
	v_mfma_f32_16x16x32_fp8_fp8 v[12:15], a[156:157], a[44:45], v[12:15]// 00000000CF34: D3F3000C 1C32599C
	v_mfma_f32_16x16x32_fp8_fp8 v[12:15], a[158:159], a[46:47], v[12:15]// 00000000CF3C: D3F3000C 1C325D9E
	v_fma_f32 v164, v8, v6, v164                               // 00000000CF44: D1CB00A4 06920D08
	v_fma_f32 v165, v9, v6, v165                               // 00000000CF4C: D1CB00A5 06960D09
	v_fma_f32 v166, v10, v6, v166                              // 00000000CF54: D1CB00A6 069A0D0A
	v_fma_f32 v167, v11, v6, v167                              // 00000000CF5C: D1CB00A7 069E0D0B
	v_mul_f32_dpp v4, v27, v44 row_newbcast:0 row_mask:0xf bank_mask:0xf// 00000000CF64: 0A0858FA FF01501B
	v_mfma_f32_16x16x32_fp8_fp8 v[8:11], a[144:145], a[48:49], 0// 00000000CF6C: D3F30008 1A026190
	v_mfma_f32_16x16x32_fp8_fp8 v[8:11], a[146:147], a[50:51], v[8:11]// 00000000CF74: D3F30008 1C226592
	v_mfma_f32_16x16x32_fp8_fp8 v[8:11], a[148:149], a[52:53], v[8:11]// 00000000CF7C: D3F30008 1C226994
	v_mfma_f32_16x16x32_fp8_fp8 v[8:11], a[150:151], a[54:55], v[8:11]// 00000000CF84: D3F30008 1C226D96
	v_fma_f32 v196, v12, v6, v196                              // 00000000CF8C: D1CB00C4 07120D0C
	v_fma_f32 v197, v13, v6, v197                              // 00000000CF94: D1CB00C5 07160D0D
	v_fma_f32 v198, v14, v6, v198                              // 00000000CF9C: D1CB00C6 071A0D0E
	v_fma_f32 v199, v15, v6, v199                              // 00000000CFA4: D1CB00C7 071E0D0F
	v_mfma_f32_16x16x32_fp8_fp8 v[12:15], a[152:153], a[48:49], 0// 00000000CFAC: D3F3000C 1A026198
	v_mfma_f32_16x16x32_fp8_fp8 v[12:15], a[154:155], a[50:51], v[12:15]// 00000000CFB4: D3F3000C 1C32659A
	v_mfma_f32_16x16x32_fp8_fp8 v[12:15], a[156:157], a[52:53], v[12:15]// 00000000CFBC: D3F3000C 1C32699C
	v_mfma_f32_16x16x32_fp8_fp8 v[12:15], a[158:159], a[54:55], v[12:15]// 00000000CFC4: D3F3000C 1C326D9E
	v_fma_f32 v168, v8, v4, v168                               // 00000000CFCC: D1CB00A8 06A20908
	v_fma_f32 v169, v9, v4, v169                               // 00000000CFD4: D1CB00A9 06A60909
	v_fma_f32 v170, v10, v4, v170                              // 00000000CFDC: D1CB00AA 06AA090A
	v_fma_f32 v171, v11, v4, v171                              // 00000000CFE4: D1CB00AB 06AE090B
	v_mul_f32_dpp v6, v27, v45 row_newbcast:0 row_mask:0xf bank_mask:0xf// 00000000CFEC: 0A0C5AFA FF01501B
	v_mfma_f32_16x16x32_fp8_fp8 v[8:11], a[144:145], a[56:57], 0// 00000000CFF4: D3F30008 1A027190
	s_add_u32 s60, 0x180, s80                                  // 00000000CFFC: 803C50FF 00000180
	s_cmp_lt_u32 s60, s81                                      // 00000000D004: BF0A513C
	s_cselect_b32 s57, s57, 0                                  // 00000000D008: 85398039
	s_cselect_b32 s3, s3, 0                                    // 00000000D00C: 85038003
	v_mfma_f32_16x16x32_fp8_fp8 v[8:11], a[146:147], a[58:59], v[8:11]// 00000000D010: D3F30008 1C227592
	s_add_u32 s60, 0x100, s80                                  // 00000000D018: 803C50FF 00000100
	s_cmp_lt_u32 s60, s81                                      // 00000000D020: BF0A513C
	s_cselect_b32 s58, s58, 0                                  // 00000000D024: 853A803A
	v_mfma_f32_16x16x32_fp8_fp8 v[8:11], a[148:149], a[60:61], v[8:11]// 00000000D028: D3F30008 1C227994
	s_add_u32 s60, 0x100, s80                                  // 00000000D030: 803C50FF 00000100
	s_cmp_lt_u32 s60, s81                                      // 00000000D038: BF0A513C
	s_cselect_b32 s83, s83, 0                                  // 00000000D03C: 85538053
	s_cselect_b32 s4, s4, 0                                    // 00000000D040: 85048004
	v_mfma_f32_16x16x32_fp8_fp8 v[8:11], a[150:151], a[62:63], v[8:11]// 00000000D044: D3F30008 1C227D96
	s_add_u32 s24, s58, s24                                    // 00000000D04C: 8018183A
	s_addc_u32 s25, 0, s25                                     // 00000000D050: 82191980
	v_fma_f32 v200, v12, v4, v200                              // 00000000D054: D1CB00C8 0722090C
	v_fma_f32 v201, v13, v4, v201                              // 00000000D05C: D1CB00C9 0726090D
	v_fma_f32 v202, v14, v4, v202                              // 00000000D064: D1CB00CA 072A090E
	v_fma_f32 v203, v15, v4, v203                              // 00000000D06C: D1CB00CB 072E090F
	v_mfma_f32_16x16x32_fp8_fp8 v[12:15], a[152:153], a[56:57], 0// 00000000D074: D3F3000C 1A027198
	s_add_u32 s20, s57, s20                                    // 00000000D07C: 80141439
	s_addc_u32 s21, 0, s21                                     // 00000000D080: 82151580
	s_add_u32 s28, s3, s28                                     // 00000000D084: 801C1C03
	s_addc_u32 s29, 0, s29                                     // 00000000D088: 821D1D80
	v_mfma_f32_16x16x32_fp8_fp8 v[12:15], a[154:155], a[58:59], v[12:15]// 00000000D08C: D3F3000C 1C32759A
	s_add_u32 s84, s83, s84                                    // 00000000D094: 80545453
	s_addc_u32 s85, 0, s85                                     // 00000000D098: 82555580
	v_mfma_f32_16x16x32_fp8_fp8 v[12:15], a[156:157], a[60:61], v[12:15]// 00000000D09C: D3F3000C 1C32799C
	s_add_u32 s32, s4, s32                                     // 00000000D0A4: 80202004
	s_addc_u32 s33, 0, s33                                     // 00000000D0A8: 82212180
	v_mfma_f32_16x16x32_fp8_fp8 v[12:15], a[158:159], a[62:63], v[12:15]// 00000000D0AC: D3F3000C 1C327D9E
	v_fma_f32 v172, v8, v6, v172                               // 00000000D0B4: D1CB00AC 06B20D08
	v_fma_f32 v173, v9, v6, v173                               // 00000000D0BC: D1CB00AD 06B60D09
	v_fma_f32 v174, v10, v6, v174                              // 00000000D0C4: D1CB00AE 06BA0D0A
	v_fma_f32 v175, v11, v6, v175                              // 00000000D0CC: D1CB00AF 06BE0D0B
	v_fma_f32 v204, v12, v6, v204                              // 00000000D0D4: D1CB00CC 07320D0C
	v_fma_f32 v205, v13, v6, v205                              // 00000000D0DC: D1CB00CD 07360D0D
	v_fma_f32 v206, v14, v6, v206                              // 00000000D0E4: D1CB00CE 073A0D0E
	v_fma_f32 v207, v15, v6, v207                              // 00000000D0EC: D1CB00CF 073E0D0F
	s_addk_i32 s80, 0x80                                       // 00000000D0F4: B7500080
	s_cmp_lt_i32 s80, s81                                      // 00000000D0F8: BF045150
	s_cbranch_scc0 label_3789                                  // 00000000D0FC: BF840DC6
	s_waitcnt vmcnt(29) lgkmcnt(0)                             // 00000000D100: BF8C407D
	v_mul_f32_dpp v4, v25, v46 row_newbcast:0 row_mask:0xf bank_mask:0xf// 00000000D104: 0A085CFA FF015019
	v_mfma_f32_16x16x32_fp8_fp8 v[8:11], a[160:161], a[64:65], 0// 00000000D10C: D3F30008 1A0281A0
	buffer_load_dword v26, v22, s[32:35], 0 offen              // 00000000D114: E0501000 80081A16
	buffer_load_dwordx4 a[144:147], v78, s[24:27], 0 offen     // 00000000D11C: E05C1000 8086904E
	v_mfma_f32_16x16x32_fp8_fp8 v[8:11], a[162:163], a[66:67], v[8:11]// 00000000D124: D3F30008 1C2285A2
	v_mfma_f32_16x16x32_fp8_fp8 v[8:11], a[164:165], a[68:69], v[8:11]// 00000000D12C: D3F30008 1C2289A4
	v_mfma_f32_16x16x32_fp8_fp8 v[8:11], a[166:167], a[70:71], v[8:11]// 00000000D134: D3F30008 1C228DA6
	v_mfma_f32_16x16x32_fp8_fp8 v[12:15], a[168:169], a[64:65], 0// 00000000D13C: D3F3000C 1A0281A8
	buffer_load_dwordx4 a[148:151], v78, s[24:27], 0 offen offset:1024// 00000000D144: E05C1400 8086944E
	v_mfma_f32_16x16x32_fp8_fp8 v[12:15], a[170:171], a[66:67], v[12:15]// 00000000D14C: D3F3000C 1C3285AA
	v_mfma_f32_16x16x32_fp8_fp8 v[12:15], a[172:173], a[68:69], v[12:15]// 00000000D154: D3F3000C 1C3289AC
	v_mfma_f32_16x16x32_fp8_fp8 v[12:15], a[174:175], a[70:71], v[12:15]// 00000000D15C: D3F3000C 1C328DAE
	v_fma_f32 v80, v8, v4, v80                                 // 00000000D164: D1CB0050 05420908
	v_fma_f32 v81, v9, v4, v81                                 // 00000000D16C: D1CB0051 05460909
	v_fma_f32 v82, v10, v4, v82                                // 00000000D174: D1CB0052 054A090A
	v_fma_f32 v83, v11, v4, v83                                // 00000000D17C: D1CB0053 054E090B
	v_mul_f32_dpp v6, v25, v47 row_newbcast:0 row_mask:0xf bank_mask:0xf// 00000000D184: 0A0C5EFA FF015019
	v_mfma_f32_16x16x32_fp8_fp8 v[8:11], a[160:161], a[72:73], 0// 00000000D18C: D3F30008 1A0291A0
	buffer_load_dwordx4 a[152:155], v79, s[24:27], 0 offen     // 00000000D194: E05C1000 8086984F
	v_mfma_f32_16x16x32_fp8_fp8 v[8:11], a[162:163], a[74:75], v[8:11]// 00000000D19C: D3F30008 1C2295A2
	v_mfma_f32_16x16x32_fp8_fp8 v[8:11], a[164:165], a[76:77], v[8:11]// 00000000D1A4: D3F30008 1C2299A4
	v_mfma_f32_16x16x32_fp8_fp8 v[8:11], a[166:167], a[78:79], v[8:11]// 00000000D1AC: D3F30008 1C229DA6
	v_fma_f32 v112, v12, v4, v112                              // 00000000D1B4: D1CB0070 05C2090C
	v_fma_f32 v113, v13, v4, v113                              // 00000000D1BC: D1CB0071 05C6090D
	v_fma_f32 v114, v14, v4, v114                              // 00000000D1C4: D1CB0072 05CA090E
	v_fma_f32 v115, v15, v4, v115                              // 00000000D1CC: D1CB0073 05CE090F
	v_mfma_f32_16x16x32_fp8_fp8 v[12:15], a[168:169], a[72:73], 0// 00000000D1D4: D3F3000C 1A0291A8
	buffer_load_dwordx4 a[156:159], v79, s[24:27], 0 offen offset:1024// 00000000D1DC: E05C1400 80869C4F
	buffer_load_dword v62, s[20:23], 0 offen lds               // 00000000D1E4: E0511000 8005003E
	s_add_u32 m0, 0x100, s48                                   // 00000000D1EC: 807C30FF 00000100
	v_mfma_f32_16x16x32_fp8_fp8 v[12:15], a[170:171], a[74:75], v[12:15]// 00000000D1F4: D3F3000C 1C3295AA
	v_mfma_f32_16x16x32_fp8_fp8 v[12:15], a[172:173], a[76:77], v[12:15]// 00000000D1FC: D3F3000C 1C3299AC
	buffer_load_dword v63, s[20:23], 0 offen lds               // 00000000D204: E0511000 8005003F
	s_add_u32 m0, 0x200, s48                                   // 00000000D20C: 807C30FF 00000200
	v_mfma_f32_16x16x32_fp8_fp8 v[12:15], a[174:175], a[78:79], v[12:15]// 00000000D214: D3F3000C 1C329DAE
	v_fma_f32 v84, v8, v6, v84                                 // 00000000D21C: D1CB0054 05520D08
	v_fma_f32 v85, v9, v6, v85                                 // 00000000D224: D1CB0055 05560D09
	v_fma_f32 v86, v10, v6, v86                                // 00000000D22C: D1CB0056 055A0D0A
	v_fma_f32 v87, v11, v6, v87                                // 00000000D234: D1CB0057 055E0D0B
	v_mul_f32_dpp v4, v25, v48 row_newbcast:0 row_mask:0xf bank_mask:0xf// 00000000D23C: 0A0860FA FF015019
	v_mfma_f32_16x16x32_fp8_fp8 v[8:11], a[160:161], a[80:81], 0// 00000000D244: D3F30008 1A02A1A0
	buffer_load_dword v64, s[20:23], 0 offen lds               // 00000000D24C: E0511000 80050040
	s_add_u32 m0, 0x300, s48                                   // 00000000D254: 807C30FF 00000300
	v_mfma_f32_16x16x32_fp8_fp8 v[8:11], a[162:163], a[82:83], v[8:11]// 00000000D25C: D3F30008 1C22A5A2
	v_mfma_f32_16x16x32_fp8_fp8 v[8:11], a[164:165], a[84:85], v[8:11]// 00000000D264: D3F30008 1C22A9A4
	buffer_load_dword v65, s[20:23], 0 offen lds               // 00000000D26C: E0511000 80050041
	s_add_u32 m0, 0x400, s48                                   // 00000000D274: 807C30FF 00000400
	v_mfma_f32_16x16x32_fp8_fp8 v[8:11], a[166:167], a[86:87], v[8:11]// 00000000D27C: D3F30008 1C22ADA6
	v_fma_f32 v116, v12, v6, v116                              // 00000000D284: D1CB0074 05D20D0C
	v_fma_f32 v117, v13, v6, v117                              // 00000000D28C: D1CB0075 05D60D0D
	v_fma_f32 v118, v14, v6, v118                              // 00000000D294: D1CB0076 05DA0D0E
	v_fma_f32 v119, v15, v6, v119                              // 00000000D29C: D1CB0077 05DE0D0F
	v_mfma_f32_16x16x32_fp8_fp8 v[12:15], a[168:169], a[80:81], 0// 00000000D2A4: D3F3000C 1A02A1A8
	buffer_load_dword v66, s[20:23], 0 offen lds               // 00000000D2AC: E0511000 80050042
	s_add_u32 m0, 0x500, s48                                   // 00000000D2B4: 807C30FF 00000500
	v_mfma_f32_16x16x32_fp8_fp8 v[12:15], a[170:171], a[82:83], v[12:15]// 00000000D2BC: D3F3000C 1C32A5AA
	v_mfma_f32_16x16x32_fp8_fp8 v[12:15], a[172:173], a[84:85], v[12:15]// 00000000D2C4: D3F3000C 1C32A9AC
	buffer_load_dword v67, s[20:23], 0 offen lds               // 00000000D2CC: E0511000 80050043
	s_add_u32 m0, 0x600, s48                                   // 00000000D2D4: 807C30FF 00000600
	v_mfma_f32_16x16x32_fp8_fp8 v[12:15], a[174:175], a[86:87], v[12:15]// 00000000D2DC: D3F3000C 1C32ADAE
	v_fma_f32 v88, v8, v4, v88                                 // 00000000D2E4: D1CB0058 05620908
	v_fma_f32 v89, v9, v4, v89                                 // 00000000D2EC: D1CB0059 05660909
	v_fma_f32 v90, v10, v4, v90                                // 00000000D2F4: D1CB005A 056A090A
	v_fma_f32 v91, v11, v4, v91                                // 00000000D2FC: D1CB005B 056E090B
	v_mul_f32_dpp v6, v25, v49 row_newbcast:0 row_mask:0xf bank_mask:0xf// 00000000D304: 0A0C62FA FF015019
	v_mfma_f32_16x16x32_fp8_fp8 v[8:11], a[160:161], a[88:89], 0// 00000000D30C: D3F30008 1A02B1A0
	buffer_load_dword v68, s[20:23], 0 offen lds               // 00000000D314: E0511000 80050044
	s_add_u32 m0, 0x700, s48                                   // 00000000D31C: 807C30FF 00000700
	v_mfma_f32_16x16x32_fp8_fp8 v[8:11], a[162:163], a[90:91], v[8:11]// 00000000D324: D3F30008 1C22B5A2
	v_mfma_f32_16x16x32_fp8_fp8 v[8:11], a[164:165], a[92:93], v[8:11]// 00000000D32C: D3F30008 1C22B9A4
	buffer_load_dword v69, s[20:23], 0 offen lds               // 00000000D334: E0511000 80050045
	s_add_u32 m0, 0x800, s48                                   // 00000000D33C: 807C30FF 00000800
	v_mfma_f32_16x16x32_fp8_fp8 v[8:11], a[166:167], a[94:95], v[8:11]// 00000000D344: D3F30008 1C22BDA6
	v_fma_f32 v120, v12, v4, v120                              // 00000000D34C: D1CB0078 05E2090C
	v_fma_f32 v121, v13, v4, v121                              // 00000000D354: D1CB0079 05E6090D
	v_fma_f32 v122, v14, v4, v122                              // 00000000D35C: D1CB007A 05EA090E
	v_fma_f32 v123, v15, v4, v123                              // 00000000D364: D1CB007B 05EE090F
	v_mfma_f32_16x16x32_fp8_fp8 v[12:15], a[168:169], a[88:89], 0// 00000000D36C: D3F3000C 1A02B1A8
	buffer_load_dword v70, s[20:23], 0 offen lds               // 00000000D374: E0511000 80050046
	s_add_u32 m0, 0x900, s48                                   // 00000000D37C: 807C30FF 00000900
	v_mfma_f32_16x16x32_fp8_fp8 v[12:15], a[170:171], a[90:91], v[12:15]// 00000000D384: D3F3000C 1C32B5AA
	v_mfma_f32_16x16x32_fp8_fp8 v[12:15], a[172:173], a[92:93], v[12:15]// 00000000D38C: D3F3000C 1C32B9AC
	buffer_load_dword v71, s[20:23], 0 offen lds               // 00000000D394: E0511000 80050047
	s_add_u32 m0, 0xa00, s48                                   // 00000000D39C: 807C30FF 00000A00
	v_mfma_f32_16x16x32_fp8_fp8 v[12:15], a[174:175], a[94:95], v[12:15]// 00000000D3A4: D3F3000C 1C32BDAE
	v_fma_f32 v92, v8, v6, v92                                 // 00000000D3AC: D1CB005C 05720D08
	v_fma_f32 v93, v9, v6, v93                                 // 00000000D3B4: D1CB005D 05760D09
	v_fma_f32 v94, v10, v6, v94                                // 00000000D3BC: D1CB005E 057A0D0A
	v_fma_f32 v95, v11, v6, v95                                // 00000000D3C4: D1CB005F 057E0D0B
	v_mul_f32_dpp v4, v25, v50 row_newbcast:0 row_mask:0xf bank_mask:0xf// 00000000D3CC: 0A0864FA FF015019
	v_mfma_f32_16x16x32_fp8_fp8 v[8:11], a[160:161], a[96:97], 0// 00000000D3D4: D3F30008 1A02C1A0
	buffer_load_dword v72, s[20:23], 0 offen lds               // 00000000D3DC: E0511000 80050048
	s_add_u32 m0, 0xb00, s48                                   // 00000000D3E4: 807C30FF 00000B00
	v_mfma_f32_16x16x32_fp8_fp8 v[8:11], a[162:163], a[98:99], v[8:11]// 00000000D3EC: D3F30008 1C22C5A2
	v_mfma_f32_16x16x32_fp8_fp8 v[8:11], a[164:165], a[100:101], v[8:11]// 00000000D3F4: D3F30008 1C22C9A4
	buffer_load_dword v73, s[20:23], 0 offen lds               // 00000000D3FC: E0511000 80050049
	s_add_u32 m0, 0xc00, s48                                   // 00000000D404: 807C30FF 00000C00
	v_mfma_f32_16x16x32_fp8_fp8 v[8:11], a[166:167], a[102:103], v[8:11]// 00000000D40C: D3F30008 1C22CDA6
	v_fma_f32 v124, v12, v6, v124                              // 00000000D414: D1CB007C 05F20D0C
	v_fma_f32 v125, v13, v6, v125                              // 00000000D41C: D1CB007D 05F60D0D
	v_fma_f32 v126, v14, v6, v126                              // 00000000D424: D1CB007E 05FA0D0E
	v_fma_f32 v127, v15, v6, v127                              // 00000000D42C: D1CB007F 05FE0D0F
	v_mfma_f32_16x16x32_fp8_fp8 v[12:15], a[168:169], a[96:97], 0// 00000000D434: D3F3000C 1A02C1A8
	buffer_load_dword v74, s[20:23], 0 offen lds               // 00000000D43C: E0511000 8005004A
	s_add_u32 m0, 0xd00, s48                                   // 00000000D444: 807C30FF 00000D00
	v_mfma_f32_16x16x32_fp8_fp8 v[12:15], a[170:171], a[98:99], v[12:15]// 00000000D44C: D3F3000C 1C32C5AA
	v_mfma_f32_16x16x32_fp8_fp8 v[12:15], a[172:173], a[100:101], v[12:15]// 00000000D454: D3F3000C 1C32C9AC
	buffer_load_dword v75, s[20:23], 0 offen lds               // 00000000D45C: E0511000 8005004B
	s_add_u32 m0, 0xe00, s48                                   // 00000000D464: 807C30FF 00000E00
	v_mfma_f32_16x16x32_fp8_fp8 v[12:15], a[174:175], a[102:103], v[12:15]// 00000000D46C: D3F3000C 1C32CDAE
	v_fma_f32 v96, v8, v4, v96                                 // 00000000D474: D1CB0060 05820908
	v_fma_f32 v97, v9, v4, v97                                 // 00000000D47C: D1CB0061 05860909
	v_fma_f32 v98, v10, v4, v98                                // 00000000D484: D1CB0062 058A090A
	v_fma_f32 v99, v11, v4, v99                                // 00000000D48C: D1CB0063 058E090B
	v_mul_f32_dpp v6, v25, v51 row_newbcast:0 row_mask:0xf bank_mask:0xf// 00000000D494: 0A0C66FA FF015019
	v_mfma_f32_16x16x32_fp8_fp8 v[8:11], a[160:161], a[104:105], 0// 00000000D49C: D3F30008 1A02D1A0
	buffer_load_dword v76, s[20:23], 0 offen lds               // 00000000D4A4: E0511000 8005004C
	s_add_u32 m0, 0xf00, s48                                   // 00000000D4AC: 807C30FF 00000F00
	v_mfma_f32_16x16x32_fp8_fp8 v[8:11], a[162:163], a[106:107], v[8:11]// 00000000D4B4: D3F30008 1C22D5A2
	v_mfma_f32_16x16x32_fp8_fp8 v[8:11], a[164:165], a[108:109], v[8:11]// 00000000D4BC: D3F30008 1C22D9A4
	buffer_load_dword v77, s[20:23], 0 offen lds               // 00000000D4C4: E0511000 8005004D
	s_add_u32 m0, 0, s49                                       // 00000000D4CC: 807C3180
	v_mfma_f32_16x16x32_fp8_fp8 v[8:11], a[166:167], a[110:111], v[8:11]// 00000000D4D0: D3F30008 1C22DDA6
	v_fma_f32 v128, v12, v4, v128                              // 00000000D4D8: D1CB0080 0602090C
	v_fma_f32 v129, v13, v4, v129                              // 00000000D4E0: D1CB0081 0606090D
	v_fma_f32 v130, v14, v4, v130                              // 00000000D4E8: D1CB0082 060A090E
	v_fma_f32 v131, v15, v4, v131                              // 00000000D4F0: D1CB0083 060E090F
	v_mfma_f32_16x16x32_fp8_fp8 v[12:15], a[168:169], a[104:105], 0// 00000000D4F8: D3F3000C 1A02D1A8
	buffer_load_dword v38, v30, s[28:31], 0 offen              // 00000000D500: E0501000 8007261E
	v_mfma_f32_16x16x32_fp8_fp8 v[12:15], a[170:171], a[106:107], v[12:15]// 00000000D508: D3F3000C 1C32D5AA
	v_mfma_f32_16x16x32_fp8_fp8 v[12:15], a[172:173], a[108:109], v[12:15]// 00000000D510: D3F3000C 1C32D9AC
	buffer_load_dword v39, v31, s[28:31], 0 offen              // 00000000D518: E0501000 8007271F
	v_mfma_f32_16x16x32_fp8_fp8 v[12:15], a[174:175], a[110:111], v[12:15]// 00000000D520: D3F3000C 1C32DDAE
	v_fma_f32 v100, v8, v6, v100                               // 00000000D528: D1CB0064 05920D08
	v_fma_f32 v101, v9, v6, v101                               // 00000000D530: D1CB0065 05960D09
	v_fma_f32 v102, v10, v6, v102                              // 00000000D538: D1CB0066 059A0D0A
	v_fma_f32 v103, v11, v6, v103                              // 00000000D540: D1CB0067 059E0D0B
	v_mul_f32_dpp v4, v25, v52 row_newbcast:0 row_mask:0xf bank_mask:0xf// 00000000D548: 0A0868FA FF015019
	v_mfma_f32_16x16x32_fp8_fp8 v[8:11], a[160:161], a[112:113], 0// 00000000D550: D3F30008 1A02E1A0
	buffer_load_dword v40, v32, s[28:31], 0 offen              // 00000000D558: E0501000 80072820
	v_mfma_f32_16x16x32_fp8_fp8 v[8:11], a[162:163], a[114:115], v[8:11]// 00000000D560: D3F30008 1C22E5A2
	v_mfma_f32_16x16x32_fp8_fp8 v[8:11], a[164:165], a[116:117], v[8:11]// 00000000D568: D3F30008 1C22E9A4
	buffer_load_dword v41, v33, s[28:31], 0 offen              // 00000000D570: E0501000 80072921
	v_mfma_f32_16x16x32_fp8_fp8 v[8:11], a[166:167], a[118:119], v[8:11]// 00000000D578: D3F30008 1C22EDA6
	v_fma_f32 v132, v12, v6, v132                              // 00000000D580: D1CB0084 06120D0C
	v_fma_f32 v133, v13, v6, v133                              // 00000000D588: D1CB0085 06160D0D
	v_fma_f32 v134, v14, v6, v134                              // 00000000D590: D1CB0086 061A0D0E
	v_fma_f32 v135, v15, v6, v135                              // 00000000D598: D1CB0087 061E0D0F
	v_mfma_f32_16x16x32_fp8_fp8 v[12:15], a[168:169], a[112:113], 0// 00000000D5A0: D3F3000C 1A02E1A8
	buffer_load_dword v42, v34, s[28:31], 0 offen              // 00000000D5A8: E0501000 80072A22
	v_mfma_f32_16x16x32_fp8_fp8 v[12:15], a[170:171], a[114:115], v[12:15]// 00000000D5B0: D3F3000C 1C32E5AA
	v_mfma_f32_16x16x32_fp8_fp8 v[12:15], a[172:173], a[116:117], v[12:15]// 00000000D5B8: D3F3000C 1C32E9AC
	buffer_load_dword v43, v35, s[28:31], 0 offen              // 00000000D5C0: E0501000 80072B23
	v_mfma_f32_16x16x32_fp8_fp8 v[12:15], a[174:175], a[118:119], v[12:15]// 00000000D5C8: D3F3000C 1C32EDAE
	v_fma_f32 v104, v8, v4, v104                               // 00000000D5D0: D1CB0068 05A20908
	v_fma_f32 v105, v9, v4, v105                               // 00000000D5D8: D1CB0069 05A60909
	v_fma_f32 v106, v10, v4, v106                              // 00000000D5E0: D1CB006A 05AA090A
	v_fma_f32 v107, v11, v4, v107                              // 00000000D5E8: D1CB006B 05AE090B
	v_mul_f32_dpp v6, v25, v53 row_newbcast:0 row_mask:0xf bank_mask:0xf// 00000000D5F0: 0A0C6AFA FF015019
	v_mfma_f32_16x16x32_fp8_fp8 v[8:11], a[160:161], a[120:121], 0// 00000000D5F8: D3F30008 1A02F1A0
	buffer_load_dword v44, v36, s[28:31], 0 offen              // 00000000D600: E0501000 80072C24
	v_mfma_f32_16x16x32_fp8_fp8 v[8:11], a[162:163], a[122:123], v[8:11]// 00000000D608: D3F30008 1C22F5A2
	v_mfma_f32_16x16x32_fp8_fp8 v[8:11], a[164:165], a[124:125], v[8:11]// 00000000D610: D3F30008 1C22F9A4
	buffer_load_dword v45, v37, s[28:31], 0 offen              // 00000000D618: E0501000 80072D25
	v_mfma_f32_16x16x32_fp8_fp8 v[8:11], a[166:167], a[126:127], v[8:11]// 00000000D620: D3F30008 1C22FDA6
	v_fma_f32 v136, v12, v4, v136                              // 00000000D628: D1CB0088 0622090C
	v_fma_f32 v137, v13, v4, v137                              // 00000000D630: D1CB0089 0626090D
	v_fma_f32 v138, v14, v4, v138                              // 00000000D638: D1CB008A 062A090E
	v_fma_f32 v139, v15, v4, v139                              // 00000000D640: D1CB008B 062E090F
	v_mfma_f32_16x16x32_fp8_fp8 v[12:15], a[168:169], a[120:121], 0// 00000000D648: D3F3000C 1A02F1A8
	v_mfma_f32_16x16x32_fp8_fp8 v[12:15], a[170:171], a[122:123], v[12:15]// 00000000D650: D3F3000C 1C32F5AA
	v_mfma_f32_16x16x32_fp8_fp8 v[12:15], a[172:173], a[124:125], v[12:15]// 00000000D658: D3F3000C 1C32F9AC
	v_mfma_f32_16x16x32_fp8_fp8 v[12:15], a[174:175], a[126:127], v[12:15]// 00000000D660: D3F3000C 1C32FDAE
	v_fma_f32 v108, v8, v6, v108                               // 00000000D668: D1CB006C 05B20D08
	v_fma_f32 v109, v9, v6, v109                               // 00000000D670: D1CB006D 05B60D09
	v_fma_f32 v110, v10, v6, v110                              // 00000000D678: D1CB006E 05BA0D0A
	v_fma_f32 v111, v11, v6, v111                              // 00000000D680: D1CB006F 05BE0D0B
	v_fma_f32 v140, v12, v6, v140                              // 00000000D688: D1CB008C 06320D0C
	v_fma_f32 v141, v13, v6, v141                              // 00000000D690: D1CB008D 06360D0D
	v_fma_f32 v142, v14, v6, v142                              // 00000000D698: D1CB008E 063A0D0E
	v_fma_f32 v143, v15, v6, v143                              // 00000000D6A0: D1CB008F 063E0D0F
	s_waitcnt vmcnt(29)                                        // 00000000D6A8: BF8C4F7D
	s_barrier                                                  // 00000000D6AC: BF8A0000
	v_mul_f32_dpp v4, v28, v46 row_newbcast:0 row_mask:0xf bank_mask:0xf// 00000000D6B0: 0A085CFA FF01501C
	v_mfma_f32_16x16x32_fp8_fp8 v[8:11], a[128:129], a[64:65], 0// 00000000D6B8: D3F30008 1A028180
	buffer_load_dword v29, v23, s[32:35], 0 offen              // 00000000D6C0: E0501000 80081D17
	buffer_load_dwordx4 a[160:163], v78, s[84:87], 0 offen     // 00000000D6C8: E05C1000 8095A04E
	v_mfma_f32_16x16x32_fp8_fp8 v[8:11], a[130:131], a[66:67], v[8:11]// 00000000D6D0: D3F30008 1C228582
	v_mfma_f32_16x16x32_fp8_fp8 v[8:11], a[132:133], a[68:69], v[8:11]// 00000000D6D8: D3F30008 1C228984
	ds_read_b128 a[0:3], v2 offset:33024                       // 00000000D6E0: DBFE8100 00000002
	ds_read_b128 a[4:7], v2 offset:33088                       // 00000000D6E8: DBFE8140 04000002
	v_mfma_f32_16x16x32_fp8_fp8 v[8:11], a[134:135], a[70:71], v[8:11]// 00000000D6F0: D3F30008 1C228D86
	v_mfma_f32_16x16x32_fp8_fp8 v[12:15], a[136:137], a[64:65], 0// 00000000D6F8: D3F3000C 1A028188
	buffer_load_dwordx4 a[164:167], v78, s[84:87], 0 offen offset:1024// 00000000D700: E05C1400 8095A44E
	v_mfma_f32_16x16x32_fp8_fp8 v[12:15], a[138:139], a[66:67], v[12:15]// 00000000D708: D3F3000C 1C32858A
	v_mfma_f32_16x16x32_fp8_fp8 v[12:15], a[140:141], a[68:69], v[12:15]// 00000000D710: D3F3000C 1C32898C
	ds_read_b128 a[8:11], v2 offset:33536                      // 00000000D718: DBFE8300 08000002
	ds_read_b128 a[12:15], v2 offset:33600                     // 00000000D720: DBFE8340 0C000002
	v_mfma_f32_16x16x32_fp8_fp8 v[12:15], a[142:143], a[70:71], v[12:15]// 00000000D728: D3F3000C 1C328D8E
	v_fma_f32 v144, v8, v4, v144                               // 00000000D730: D1CB0090 06420908
	v_fma_f32 v145, v9, v4, v145                               // 00000000D738: D1CB0091 06460909
	v_fma_f32 v146, v10, v4, v146                              // 00000000D740: D1CB0092 064A090A
	v_fma_f32 v147, v11, v4, v147                              // 00000000D748: D1CB0093 064E090B
	v_mul_f32_dpp v6, v28, v47 row_newbcast:0 row_mask:0xf bank_mask:0xf// 00000000D750: 0A0C5EFA FF01501C
	v_mfma_f32_16x16x32_fp8_fp8 v[8:11], a[128:129], a[72:73], 0// 00000000D758: D3F30008 1A029180
	buffer_load_dwordx4 a[168:171], v79, s[84:87], 0 offen     // 00000000D760: E05C1000 8095A84F
	v_mfma_f32_16x16x32_fp8_fp8 v[8:11], a[130:131], a[74:75], v[8:11]// 00000000D768: D3F30008 1C229582
	v_mfma_f32_16x16x32_fp8_fp8 v[8:11], a[132:133], a[76:77], v[8:11]// 00000000D770: D3F30008 1C229984
	ds_read_b128 a[16:19], v2 offset:34048                     // 00000000D778: DBFE8500 10000002
	ds_read_b128 a[20:23], v2 offset:34112                     // 00000000D780: DBFE8540 14000002
	v_mfma_f32_16x16x32_fp8_fp8 v[8:11], a[134:135], a[78:79], v[8:11]// 00000000D788: D3F30008 1C229D86
	v_fma_f32 v176, v12, v4, v176                              // 00000000D790: D1CB00B0 06C2090C
	v_fma_f32 v177, v13, v4, v177                              // 00000000D798: D1CB00B1 06C6090D
	v_fma_f32 v178, v14, v4, v178                              // 00000000D7A0: D1CB00B2 06CA090E
	v_fma_f32 v179, v15, v4, v179                              // 00000000D7A8: D1CB00B3 06CE090F
	v_mfma_f32_16x16x32_fp8_fp8 v[12:15], a[136:137], a[72:73], 0// 00000000D7B0: D3F3000C 1A029188
	buffer_load_dwordx4 a[172:175], v79, s[84:87], 0 offen offset:1024// 00000000D7B8: E05C1400 8095AC4F
	v_mfma_f32_16x16x32_fp8_fp8 v[12:15], a[138:139], a[74:75], v[12:15]// 00000000D7C0: D3F3000C 1C32958A
	v_mfma_f32_16x16x32_fp8_fp8 v[12:15], a[140:141], a[76:77], v[12:15]// 00000000D7C8: D3F3000C 1C32998C
	ds_read_b128 a[24:27], v2 offset:34560                     // 00000000D7D0: DBFE8700 18000002
	ds_read_b128 a[28:31], v2 offset:34624                     // 00000000D7D8: DBFE8740 1C000002
	v_mfma_f32_16x16x32_fp8_fp8 v[12:15], a[142:143], a[78:79], v[12:15]// 00000000D7E0: D3F3000C 1C329D8E
	v_fma_f32 v148, v8, v6, v148                               // 00000000D7E8: D1CB0094 06520D08
	v_fma_f32 v149, v9, v6, v149                               // 00000000D7F0: D1CB0095 06560D09
	v_fma_f32 v150, v10, v6, v150                              // 00000000D7F8: D1CB0096 065A0D0A
	v_fma_f32 v151, v11, v6, v151                              // 00000000D800: D1CB0097 065E0D0B
	v_mul_f32_dpp v4, v28, v48 row_newbcast:0 row_mask:0xf bank_mask:0xf// 00000000D808: 0A0860FA FF01501C
	v_mfma_f32_16x16x32_fp8_fp8 v[8:11], a[128:129], a[80:81], 0// 00000000D810: D3F30008 1A02A180
	v_mfma_f32_16x16x32_fp8_fp8 v[8:11], a[130:131], a[82:83], v[8:11]// 00000000D818: D3F30008 1C22A582
	v_mfma_f32_16x16x32_fp8_fp8 v[8:11], a[132:133], a[84:85], v[8:11]// 00000000D820: D3F30008 1C22A984
	ds_read_b128 a[32:35], v2 offset:35072                     // 00000000D828: DBFE8900 20000002
	ds_read_b128 a[36:39], v2 offset:35136                     // 00000000D830: DBFE8940 24000002
	v_mfma_f32_16x16x32_fp8_fp8 v[8:11], a[134:135], a[86:87], v[8:11]// 00000000D838: D3F30008 1C22AD86
	v_fma_f32 v180, v12, v6, v180                              // 00000000D840: D1CB00B4 06D20D0C
	v_fma_f32 v181, v13, v6, v181                              // 00000000D848: D1CB00B5 06D60D0D
	v_fma_f32 v182, v14, v6, v182                              // 00000000D850: D1CB00B6 06DA0D0E
	v_fma_f32 v183, v15, v6, v183                              // 00000000D858: D1CB00B7 06DE0D0F
	v_mfma_f32_16x16x32_fp8_fp8 v[12:15], a[136:137], a[80:81], 0// 00000000D860: D3F3000C 1A02A188
	v_mfma_f32_16x16x32_fp8_fp8 v[12:15], a[138:139], a[82:83], v[12:15]// 00000000D868: D3F3000C 1C32A58A
	v_mfma_f32_16x16x32_fp8_fp8 v[12:15], a[140:141], a[84:85], v[12:15]// 00000000D870: D3F3000C 1C32A98C
	ds_read_b128 a[40:43], v2 offset:35584                     // 00000000D878: DBFE8B00 28000002
	ds_read_b128 a[44:47], v2 offset:35648                     // 00000000D880: DBFE8B40 2C000002
	v_mfma_f32_16x16x32_fp8_fp8 v[12:15], a[142:143], a[86:87], v[12:15]// 00000000D888: D3F3000C 1C32AD8E
	v_fma_f32 v152, v8, v4, v152                               // 00000000D890: D1CB0098 06620908
	v_fma_f32 v153, v9, v4, v153                               // 00000000D898: D1CB0099 06660909
	v_fma_f32 v154, v10, v4, v154                              // 00000000D8A0: D1CB009A 066A090A
	v_fma_f32 v155, v11, v4, v155                              // 00000000D8A8: D1CB009B 066E090B
	v_mul_f32_dpp v6, v28, v49 row_newbcast:0 row_mask:0xf bank_mask:0xf// 00000000D8B0: 0A0C62FA FF01501C
	v_mfma_f32_16x16x32_fp8_fp8 v[8:11], a[128:129], a[88:89], 0// 00000000D8B8: D3F30008 1A02B180
	v_mfma_f32_16x16x32_fp8_fp8 v[8:11], a[130:131], a[90:91], v[8:11]// 00000000D8C0: D3F30008 1C22B582
	v_mfma_f32_16x16x32_fp8_fp8 v[8:11], a[132:133], a[92:93], v[8:11]// 00000000D8C8: D3F30008 1C22B984
	ds_read_b128 a[48:51], v2 offset:36096                     // 00000000D8D0: DBFE8D00 30000002
	ds_read_b128 a[52:55], v2 offset:36160                     // 00000000D8D8: DBFE8D40 34000002
	v_mfma_f32_16x16x32_fp8_fp8 v[8:11], a[134:135], a[94:95], v[8:11]// 00000000D8E0: D3F30008 1C22BD86
	v_fma_f32 v184, v12, v4, v184                              // 00000000D8E8: D1CB00B8 06E2090C
	v_fma_f32 v185, v13, v4, v185                              // 00000000D8F0: D1CB00B9 06E6090D
	v_fma_f32 v186, v14, v4, v186                              // 00000000D8F8: D1CB00BA 06EA090E
	v_fma_f32 v187, v15, v4, v187                              // 00000000D900: D1CB00BB 06EE090F
	v_mfma_f32_16x16x32_fp8_fp8 v[12:15], a[136:137], a[88:89], 0// 00000000D908: D3F3000C 1A02B188
	v_mfma_f32_16x16x32_fp8_fp8 v[12:15], a[138:139], a[90:91], v[12:15]// 00000000D910: D3F3000C 1C32B58A
	v_mfma_f32_16x16x32_fp8_fp8 v[12:15], a[140:141], a[92:93], v[12:15]// 00000000D918: D3F3000C 1C32B98C
	ds_read_b128 a[56:59], v2 offset:36608                     // 00000000D920: DBFE8F00 38000002
	ds_read_b128 a[60:63], v2 offset:36672                     // 00000000D928: DBFE8F40 3C000002
	v_mfma_f32_16x16x32_fp8_fp8 v[12:15], a[142:143], a[94:95], v[12:15]// 00000000D930: D3F3000C 1C32BD8E
	v_fma_f32 v156, v8, v6, v156                               // 00000000D938: D1CB009C 06720D08
	v_fma_f32 v157, v9, v6, v157                               // 00000000D940: D1CB009D 06760D09
	v_fma_f32 v158, v10, v6, v158                              // 00000000D948: D1CB009E 067A0D0A
	v_fma_f32 v159, v11, v6, v159                              // 00000000D950: D1CB009F 067E0D0B
	v_mul_f32_dpp v4, v28, v50 row_newbcast:0 row_mask:0xf bank_mask:0xf// 00000000D958: 0A0864FA FF01501C
	v_mfma_f32_16x16x32_fp8_fp8 v[8:11], a[128:129], a[96:97], 0// 00000000D960: D3F30008 1A02C180
	v_mfma_f32_16x16x32_fp8_fp8 v[8:11], a[130:131], a[98:99], v[8:11]// 00000000D968: D3F30008 1C22C582
	v_mfma_f32_16x16x32_fp8_fp8 v[8:11], a[132:133], a[100:101], v[8:11]// 00000000D970: D3F30008 1C22C984
	v_mfma_f32_16x16x32_fp8_fp8 v[8:11], a[134:135], a[102:103], v[8:11]// 00000000D978: D3F30008 1C22CD86
	v_fma_f32 v188, v12, v6, v188                              // 00000000D980: D1CB00BC 06F20D0C
	v_fma_f32 v189, v13, v6, v189                              // 00000000D988: D1CB00BD 06F60D0D
	v_fma_f32 v190, v14, v6, v190                              // 00000000D990: D1CB00BE 06FA0D0E
	v_fma_f32 v191, v15, v6, v191                              // 00000000D998: D1CB00BF 06FE0D0F
	v_mfma_f32_16x16x32_fp8_fp8 v[12:15], a[136:137], a[96:97], 0// 00000000D9A0: D3F3000C 1A02C188
	v_mfma_f32_16x16x32_fp8_fp8 v[12:15], a[138:139], a[98:99], v[12:15]// 00000000D9A8: D3F3000C 1C32C58A
	v_mfma_f32_16x16x32_fp8_fp8 v[12:15], a[140:141], a[100:101], v[12:15]// 00000000D9B0: D3F3000C 1C32C98C
	v_mfma_f32_16x16x32_fp8_fp8 v[12:15], a[142:143], a[102:103], v[12:15]// 00000000D9B8: D3F3000C 1C32CD8E
	v_fma_f32 v160, v8, v4, v160                               // 00000000D9C0: D1CB00A0 06820908
	v_fma_f32 v161, v9, v4, v161                               // 00000000D9C8: D1CB00A1 06860909
	v_fma_f32 v162, v10, v4, v162                              // 00000000D9D0: D1CB00A2 068A090A
	v_fma_f32 v163, v11, v4, v163                              // 00000000D9D8: D1CB00A3 068E090B
	v_mul_f32_dpp v6, v28, v51 row_newbcast:0 row_mask:0xf bank_mask:0xf// 00000000D9E0: 0A0C66FA FF01501C
	v_mfma_f32_16x16x32_fp8_fp8 v[8:11], a[128:129], a[104:105], 0// 00000000D9E8: D3F30008 1A02D180
	v_mfma_f32_16x16x32_fp8_fp8 v[8:11], a[130:131], a[106:107], v[8:11]// 00000000D9F0: D3F30008 1C22D582
	v_mfma_f32_16x16x32_fp8_fp8 v[8:11], a[132:133], a[108:109], v[8:11]// 00000000D9F8: D3F30008 1C22D984
	v_mfma_f32_16x16x32_fp8_fp8 v[8:11], a[134:135], a[110:111], v[8:11]// 00000000DA00: D3F30008 1C22DD86
	v_fma_f32 v192, v12, v4, v192                              // 00000000DA08: D1CB00C0 0702090C
	v_fma_f32 v193, v13, v4, v193                              // 00000000DA10: D1CB00C1 0706090D
	v_fma_f32 v194, v14, v4, v194                              // 00000000DA18: D1CB00C2 070A090E
	v_fma_f32 v195, v15, v4, v195                              // 00000000DA20: D1CB00C3 070E090F
	v_mfma_f32_16x16x32_fp8_fp8 v[12:15], a[136:137], a[104:105], 0// 00000000DA28: D3F3000C 1A02D188
	v_mfma_f32_16x16x32_fp8_fp8 v[12:15], a[138:139], a[106:107], v[12:15]// 00000000DA30: D3F3000C 1C32D58A
	v_mfma_f32_16x16x32_fp8_fp8 v[12:15], a[140:141], a[108:109], v[12:15]// 00000000DA38: D3F3000C 1C32D98C
	v_mfma_f32_16x16x32_fp8_fp8 v[12:15], a[142:143], a[110:111], v[12:15]// 00000000DA40: D3F3000C 1C32DD8E
	v_fma_f32 v164, v8, v6, v164                               // 00000000DA48: D1CB00A4 06920D08
	v_fma_f32 v165, v9, v6, v165                               // 00000000DA50: D1CB00A5 06960D09
	v_fma_f32 v166, v10, v6, v166                              // 00000000DA58: D1CB00A6 069A0D0A
	v_fma_f32 v167, v11, v6, v167                              // 00000000DA60: D1CB00A7 069E0D0B
	v_mul_f32_dpp v4, v28, v52 row_newbcast:0 row_mask:0xf bank_mask:0xf// 00000000DA68: 0A0868FA FF01501C
	v_mfma_f32_16x16x32_fp8_fp8 v[8:11], a[128:129], a[112:113], 0// 00000000DA70: D3F30008 1A02E180
	v_mfma_f32_16x16x32_fp8_fp8 v[8:11], a[130:131], a[114:115], v[8:11]// 00000000DA78: D3F30008 1C22E582
	v_mfma_f32_16x16x32_fp8_fp8 v[8:11], a[132:133], a[116:117], v[8:11]// 00000000DA80: D3F30008 1C22E984
	v_mfma_f32_16x16x32_fp8_fp8 v[8:11], a[134:135], a[118:119], v[8:11]// 00000000DA88: D3F30008 1C22ED86
	v_fma_f32 v196, v12, v6, v196                              // 00000000DA90: D1CB00C4 07120D0C
	v_fma_f32 v197, v13, v6, v197                              // 00000000DA98: D1CB00C5 07160D0D
	v_fma_f32 v198, v14, v6, v198                              // 00000000DAA0: D1CB00C6 071A0D0E
	v_fma_f32 v199, v15, v6, v199                              // 00000000DAA8: D1CB00C7 071E0D0F
	v_mfma_f32_16x16x32_fp8_fp8 v[12:15], a[136:137], a[112:113], 0// 00000000DAB0: D3F3000C 1A02E188
	v_mfma_f32_16x16x32_fp8_fp8 v[12:15], a[138:139], a[114:115], v[12:15]// 00000000DAB8: D3F3000C 1C32E58A
	v_mfma_f32_16x16x32_fp8_fp8 v[12:15], a[140:141], a[116:117], v[12:15]// 00000000DAC0: D3F3000C 1C32E98C
	v_mfma_f32_16x16x32_fp8_fp8 v[12:15], a[142:143], a[118:119], v[12:15]// 00000000DAC8: D3F3000C 1C32ED8E
	v_fma_f32 v168, v8, v4, v168                               // 00000000DAD0: D1CB00A8 06A20908
	v_fma_f32 v169, v9, v4, v169                               // 00000000DAD8: D1CB00A9 06A60909
	v_fma_f32 v170, v10, v4, v170                              // 00000000DAE0: D1CB00AA 06AA090A
	v_fma_f32 v171, v11, v4, v171                              // 00000000DAE8: D1CB00AB 06AE090B
	v_mul_f32_dpp v6, v28, v53 row_newbcast:0 row_mask:0xf bank_mask:0xf// 00000000DAF0: 0A0C6AFA FF01501C
	v_mfma_f32_16x16x32_fp8_fp8 v[8:11], a[128:129], a[120:121], 0// 00000000DAF8: D3F30008 1A02F180
	s_add_u32 s60, 0x180, s80                                  // 00000000DB00: 803C50FF 00000180
	s_cmp_lt_u32 s60, s81                                      // 00000000DB08: BF0A513C
	s_cselect_b32 s57, s57, 0                                  // 00000000DB0C: 85398039
	s_cselect_b32 s3, s3, 0                                    // 00000000DB10: 85038003
	v_mfma_f32_16x16x32_fp8_fp8 v[8:11], a[130:131], a[122:123], v[8:11]// 00000000DB14: D3F30008 1C22F582
	s_add_u32 s60, 0x100, s80                                  // 00000000DB1C: 803C50FF 00000100
	s_cmp_lt_u32 s60, s81                                      // 00000000DB24: BF0A513C
	s_cselect_b32 s58, s58, 0                                  // 00000000DB28: 853A803A
	v_mfma_f32_16x16x32_fp8_fp8 v[8:11], a[132:133], a[124:125], v[8:11]// 00000000DB2C: D3F30008 1C22F984
	s_add_u32 s60, 0x100, s80                                  // 00000000DB34: 803C50FF 00000100
	s_cmp_lt_u32 s60, s81                                      // 00000000DB3C: BF0A513C
	s_cselect_b32 s83, s83, 0                                  // 00000000DB40: 85538053
	s_cselect_b32 s4, s4, 0                                    // 00000000DB44: 85048004
	v_mfma_f32_16x16x32_fp8_fp8 v[8:11], a[134:135], a[126:127], v[8:11]// 00000000DB48: D3F30008 1C22FD86
	s_add_u32 s24, s58, s24                                    // 00000000DB50: 8018183A
	s_addc_u32 s25, 0, s25                                     // 00000000DB54: 82191980
	v_fma_f32 v200, v12, v4, v200                              // 00000000DB58: D1CB00C8 0722090C
	v_fma_f32 v201, v13, v4, v201                              // 00000000DB60: D1CB00C9 0726090D
	v_fma_f32 v202, v14, v4, v202                              // 00000000DB68: D1CB00CA 072A090E
	v_fma_f32 v203, v15, v4, v203                              // 00000000DB70: D1CB00CB 072E090F
	v_mfma_f32_16x16x32_fp8_fp8 v[12:15], a[136:137], a[120:121], 0// 00000000DB78: D3F3000C 1A02F188
	s_add_u32 s20, s57, s20                                    // 00000000DB80: 80141439
	s_addc_u32 s21, 0, s21                                     // 00000000DB84: 82151580
	s_add_u32 s28, s3, s28                                     // 00000000DB88: 801C1C03
	s_addc_u32 s29, 0, s29                                     // 00000000DB8C: 821D1D80
	v_mfma_f32_16x16x32_fp8_fp8 v[12:15], a[138:139], a[122:123], v[12:15]// 00000000DB90: D3F3000C 1C32F58A
	s_add_u32 s84, s83, s84                                    // 00000000DB98: 80545453
	s_addc_u32 s85, 0, s85                                     // 00000000DB9C: 82555580
	v_mfma_f32_16x16x32_fp8_fp8 v[12:15], a[140:141], a[124:125], v[12:15]// 00000000DBA0: D3F3000C 1C32F98C
	s_add_u32 s32, s4, s32                                     // 00000000DBA8: 80202004
	s_addc_u32 s33, 0, s33                                     // 00000000DBAC: 82212180
	v_mfma_f32_16x16x32_fp8_fp8 v[12:15], a[142:143], a[126:127], v[12:15]// 00000000DBB0: D3F3000C 1C32FD8E
	v_fma_f32 v172, v8, v6, v172                               // 00000000DBB8: D1CB00AC 06B20D08
	v_fma_f32 v173, v9, v6, v173                               // 00000000DBC0: D1CB00AD 06B60D09
	v_fma_f32 v174, v10, v6, v174                              // 00000000DBC8: D1CB00AE 06BA0D0A
	v_fma_f32 v175, v11, v6, v175                              // 00000000DBD0: D1CB00AF 06BE0D0B
	v_fma_f32 v204, v12, v6, v204                              // 00000000DBD8: D1CB00CC 07320D0C
	v_fma_f32 v205, v13, v6, v205                              // 00000000DBE0: D1CB00CD 07360D0D
	v_fma_f32 v206, v14, v6, v206                              // 00000000DBE8: D1CB00CE 073A0D0E
	v_fma_f32 v207, v15, v6, v207                              // 00000000DBF0: D1CB00CF 073E0D0F
	s_addk_i32 s80, 0x80                                       // 00000000DBF8: B7500080
	s_cmp_lt_i32 s80, s81                                      // 00000000DBFC: BF045150
	s_cbranch_scc0 label_3789                                  // 00000000DC00: BF840B05
	s_waitcnt vmcnt(29) lgkmcnt(0)                             // 00000000DC04: BF8C407D
	v_mul_f32_dpp v4, v26, v54 row_newbcast:0 row_mask:0xf bank_mask:0xf// 00000000DC08: 0A086CFA FF01501A
	v_mfma_f32_16x16x32_fp8_fp8 v[8:11], a[144:145], a[0:1], 0 // 00000000DC10: D3F30008 1A020190
	buffer_load_dword v24, v22, s[32:35], 0 offen              // 00000000DC18: E0501000 80081816
	buffer_load_dwordx4 a[128:131], v78, s[24:27], 0 offen     // 00000000DC20: E05C1000 8086804E
	v_mfma_f32_16x16x32_fp8_fp8 v[8:11], a[146:147], a[2:3], v[8:11]// 00000000DC28: D3F30008 1C220592
	v_mfma_f32_16x16x32_fp8_fp8 v[8:11], a[148:149], a[4:5], v[8:11]// 00000000DC30: D3F30008 1C220994
	v_mfma_f32_16x16x32_fp8_fp8 v[8:11], a[150:151], a[6:7], v[8:11]// 00000000DC38: D3F30008 1C220D96
	v_mfma_f32_16x16x32_fp8_fp8 v[12:15], a[152:153], a[0:1], 0// 00000000DC40: D3F3000C 1A020198
	buffer_load_dwordx4 a[132:135], v78, s[24:27], 0 offen offset:1024// 00000000DC48: E05C1400 8086844E
	v_mfma_f32_16x16x32_fp8_fp8 v[12:15], a[154:155], a[2:3], v[12:15]// 00000000DC50: D3F3000C 1C32059A
	v_mfma_f32_16x16x32_fp8_fp8 v[12:15], a[156:157], a[4:5], v[12:15]// 00000000DC58: D3F3000C 1C32099C
	v_mfma_f32_16x16x32_fp8_fp8 v[12:15], a[158:159], a[6:7], v[12:15]// 00000000DC60: D3F3000C 1C320D9E
	v_fma_f32 v80, v8, v4, v80                                 // 00000000DC68: D1CB0050 05420908
	v_fma_f32 v81, v9, v4, v81                                 // 00000000DC70: D1CB0051 05460909
	v_fma_f32 v82, v10, v4, v82                                // 00000000DC78: D1CB0052 054A090A
	v_fma_f32 v83, v11, v4, v83                                // 00000000DC80: D1CB0053 054E090B
	v_mul_f32_dpp v6, v26, v55 row_newbcast:0 row_mask:0xf bank_mask:0xf// 00000000DC88: 0A0C6EFA FF01501A
	v_mfma_f32_16x16x32_fp8_fp8 v[8:11], a[144:145], a[8:9], 0 // 00000000DC90: D3F30008 1A021190
	buffer_load_dwordx4 a[136:139], v79, s[24:27], 0 offen     // 00000000DC98: E05C1000 8086884F
	v_mfma_f32_16x16x32_fp8_fp8 v[8:11], a[146:147], a[10:11], v[8:11]// 00000000DCA0: D3F30008 1C221592
	v_mfma_f32_16x16x32_fp8_fp8 v[8:11], a[148:149], a[12:13], v[8:11]// 00000000DCA8: D3F30008 1C221994
	v_mfma_f32_16x16x32_fp8_fp8 v[8:11], a[150:151], a[14:15], v[8:11]// 00000000DCB0: D3F30008 1C221D96
	v_fma_f32 v112, v12, v4, v112                              // 00000000DCB8: D1CB0070 05C2090C
	v_fma_f32 v113, v13, v4, v113                              // 00000000DCC0: D1CB0071 05C6090D
	v_fma_f32 v114, v14, v4, v114                              // 00000000DCC8: D1CB0072 05CA090E
	v_fma_f32 v115, v15, v4, v115                              // 00000000DCD0: D1CB0073 05CE090F
	v_mfma_f32_16x16x32_fp8_fp8 v[12:15], a[152:153], a[8:9], 0// 00000000DCD8: D3F3000C 1A021198
	buffer_load_dwordx4 a[140:143], v79, s[24:27], 0 offen offset:1024// 00000000DCE0: E05C1400 80868C4F
	buffer_load_dword v62, s[20:23], 0 offen lds               // 00000000DCE8: E0511000 8005003E
	s_add_u32 m0, 0x100, s49                                   // 00000000DCF0: 807C31FF 00000100
	v_mfma_f32_16x16x32_fp8_fp8 v[12:15], a[154:155], a[10:11], v[12:15]// 00000000DCF8: D3F3000C 1C32159A
	v_mfma_f32_16x16x32_fp8_fp8 v[12:15], a[156:157], a[12:13], v[12:15]// 00000000DD00: D3F3000C 1C32199C
	buffer_load_dword v63, s[20:23], 0 offen lds               // 00000000DD08: E0511000 8005003F
	s_add_u32 m0, 0x200, s49                                   // 00000000DD10: 807C31FF 00000200
	v_mfma_f32_16x16x32_fp8_fp8 v[12:15], a[158:159], a[14:15], v[12:15]// 00000000DD18: D3F3000C 1C321D9E
	v_fma_f32 v84, v8, v6, v84                                 // 00000000DD20: D1CB0054 05520D08
	v_fma_f32 v85, v9, v6, v85                                 // 00000000DD28: D1CB0055 05560D09
	v_fma_f32 v86, v10, v6, v86                                // 00000000DD30: D1CB0056 055A0D0A
	v_fma_f32 v87, v11, v6, v87                                // 00000000DD38: D1CB0057 055E0D0B
	v_mul_f32_dpp v4, v26, v56 row_newbcast:0 row_mask:0xf bank_mask:0xf// 00000000DD40: 0A0870FA FF01501A
	v_mfma_f32_16x16x32_fp8_fp8 v[8:11], a[144:145], a[16:17], 0// 00000000DD48: D3F30008 1A022190
	buffer_load_dword v64, s[20:23], 0 offen lds               // 00000000DD50: E0511000 80050040
	s_add_u32 m0, 0x300, s49                                   // 00000000DD58: 807C31FF 00000300
	v_mfma_f32_16x16x32_fp8_fp8 v[8:11], a[146:147], a[18:19], v[8:11]// 00000000DD60: D3F30008 1C222592
	v_mfma_f32_16x16x32_fp8_fp8 v[8:11], a[148:149], a[20:21], v[8:11]// 00000000DD68: D3F30008 1C222994
	buffer_load_dword v65, s[20:23], 0 offen lds               // 00000000DD70: E0511000 80050041
	s_add_u32 m0, 0x400, s49                                   // 00000000DD78: 807C31FF 00000400
	v_mfma_f32_16x16x32_fp8_fp8 v[8:11], a[150:151], a[22:23], v[8:11]// 00000000DD80: D3F30008 1C222D96
	v_fma_f32 v116, v12, v6, v116                              // 00000000DD88: D1CB0074 05D20D0C
	v_fma_f32 v117, v13, v6, v117                              // 00000000DD90: D1CB0075 05D60D0D
	v_fma_f32 v118, v14, v6, v118                              // 00000000DD98: D1CB0076 05DA0D0E
	v_fma_f32 v119, v15, v6, v119                              // 00000000DDA0: D1CB0077 05DE0D0F
	v_mfma_f32_16x16x32_fp8_fp8 v[12:15], a[152:153], a[16:17], 0// 00000000DDA8: D3F3000C 1A022198
	buffer_load_dword v66, s[20:23], 0 offen lds               // 00000000DDB0: E0511000 80050042
	s_add_u32 m0, 0x500, s49                                   // 00000000DDB8: 807C31FF 00000500
	v_mfma_f32_16x16x32_fp8_fp8 v[12:15], a[154:155], a[18:19], v[12:15]// 00000000DDC0: D3F3000C 1C32259A
	v_mfma_f32_16x16x32_fp8_fp8 v[12:15], a[156:157], a[20:21], v[12:15]// 00000000DDC8: D3F3000C 1C32299C
	buffer_load_dword v67, s[20:23], 0 offen lds               // 00000000DDD0: E0511000 80050043
	s_add_u32 m0, 0x600, s49                                   // 00000000DDD8: 807C31FF 00000600
	v_mfma_f32_16x16x32_fp8_fp8 v[12:15], a[158:159], a[22:23], v[12:15]// 00000000DDE0: D3F3000C 1C322D9E
	v_fma_f32 v88, v8, v4, v88                                 // 00000000DDE8: D1CB0058 05620908
	v_fma_f32 v89, v9, v4, v89                                 // 00000000DDF0: D1CB0059 05660909
	v_fma_f32 v90, v10, v4, v90                                // 00000000DDF8: D1CB005A 056A090A
	v_fma_f32 v91, v11, v4, v91                                // 00000000DE00: D1CB005B 056E090B
	v_mul_f32_dpp v6, v26, v57 row_newbcast:0 row_mask:0xf bank_mask:0xf// 00000000DE08: 0A0C72FA FF01501A
	v_mfma_f32_16x16x32_fp8_fp8 v[8:11], a[144:145], a[24:25], 0// 00000000DE10: D3F30008 1A023190
	buffer_load_dword v68, s[20:23], 0 offen lds               // 00000000DE18: E0511000 80050044
	s_add_u32 m0, 0x700, s49                                   // 00000000DE20: 807C31FF 00000700
	v_mfma_f32_16x16x32_fp8_fp8 v[8:11], a[146:147], a[26:27], v[8:11]// 00000000DE28: D3F30008 1C223592
	v_mfma_f32_16x16x32_fp8_fp8 v[8:11], a[148:149], a[28:29], v[8:11]// 00000000DE30: D3F30008 1C223994
	buffer_load_dword v69, s[20:23], 0 offen lds               // 00000000DE38: E0511000 80050045
	s_add_u32 m0, 0x800, s49                                   // 00000000DE40: 807C31FF 00000800
	v_mfma_f32_16x16x32_fp8_fp8 v[8:11], a[150:151], a[30:31], v[8:11]// 00000000DE48: D3F30008 1C223D96
	v_fma_f32 v120, v12, v4, v120                              // 00000000DE50: D1CB0078 05E2090C
	v_fma_f32 v121, v13, v4, v121                              // 00000000DE58: D1CB0079 05E6090D
	v_fma_f32 v122, v14, v4, v122                              // 00000000DE60: D1CB007A 05EA090E
	v_fma_f32 v123, v15, v4, v123                              // 00000000DE68: D1CB007B 05EE090F
	v_mfma_f32_16x16x32_fp8_fp8 v[12:15], a[152:153], a[24:25], 0// 00000000DE70: D3F3000C 1A023198
	buffer_load_dword v70, s[20:23], 0 offen lds               // 00000000DE78: E0511000 80050046
	s_add_u32 m0, 0x900, s49                                   // 00000000DE80: 807C31FF 00000900
	v_mfma_f32_16x16x32_fp8_fp8 v[12:15], a[154:155], a[26:27], v[12:15]// 00000000DE88: D3F3000C 1C32359A
	v_mfma_f32_16x16x32_fp8_fp8 v[12:15], a[156:157], a[28:29], v[12:15]// 00000000DE90: D3F3000C 1C32399C
	buffer_load_dword v71, s[20:23], 0 offen lds               // 00000000DE98: E0511000 80050047
	s_add_u32 m0, 0xa00, s49                                   // 00000000DEA0: 807C31FF 00000A00
	v_mfma_f32_16x16x32_fp8_fp8 v[12:15], a[158:159], a[30:31], v[12:15]// 00000000DEA8: D3F3000C 1C323D9E
	v_fma_f32 v92, v8, v6, v92                                 // 00000000DEB0: D1CB005C 05720D08
	v_fma_f32 v93, v9, v6, v93                                 // 00000000DEB8: D1CB005D 05760D09
	v_fma_f32 v94, v10, v6, v94                                // 00000000DEC0: D1CB005E 057A0D0A
	v_fma_f32 v95, v11, v6, v95                                // 00000000DEC8: D1CB005F 057E0D0B
	v_mul_f32_dpp v4, v26, v58 row_newbcast:0 row_mask:0xf bank_mask:0xf// 00000000DED0: 0A0874FA FF01501A
	v_mfma_f32_16x16x32_fp8_fp8 v[8:11], a[144:145], a[32:33], 0// 00000000DED8: D3F30008 1A024190
	buffer_load_dword v72, s[20:23], 0 offen lds               // 00000000DEE0: E0511000 80050048
	s_add_u32 m0, 0xb00, s49                                   // 00000000DEE8: 807C31FF 00000B00
	v_mfma_f32_16x16x32_fp8_fp8 v[8:11], a[146:147], a[34:35], v[8:11]// 00000000DEF0: D3F30008 1C224592
	v_mfma_f32_16x16x32_fp8_fp8 v[8:11], a[148:149], a[36:37], v[8:11]// 00000000DEF8: D3F30008 1C224994
	buffer_load_dword v73, s[20:23], 0 offen lds               // 00000000DF00: E0511000 80050049
	s_add_u32 m0, 0xc00, s49                                   // 00000000DF08: 807C31FF 00000C00
	v_mfma_f32_16x16x32_fp8_fp8 v[8:11], a[150:151], a[38:39], v[8:11]// 00000000DF10: D3F30008 1C224D96
	v_fma_f32 v124, v12, v6, v124                              // 00000000DF18: D1CB007C 05F20D0C
	v_fma_f32 v125, v13, v6, v125                              // 00000000DF20: D1CB007D 05F60D0D
	v_fma_f32 v126, v14, v6, v126                              // 00000000DF28: D1CB007E 05FA0D0E
	v_fma_f32 v127, v15, v6, v127                              // 00000000DF30: D1CB007F 05FE0D0F
	v_mfma_f32_16x16x32_fp8_fp8 v[12:15], a[152:153], a[32:33], 0// 00000000DF38: D3F3000C 1A024198
	buffer_load_dword v74, s[20:23], 0 offen lds               // 00000000DF40: E0511000 8005004A
	s_add_u32 m0, 0xd00, s49                                   // 00000000DF48: 807C31FF 00000D00
	v_mfma_f32_16x16x32_fp8_fp8 v[12:15], a[154:155], a[34:35], v[12:15]// 00000000DF50: D3F3000C 1C32459A
	v_mfma_f32_16x16x32_fp8_fp8 v[12:15], a[156:157], a[36:37], v[12:15]// 00000000DF58: D3F3000C 1C32499C
	buffer_load_dword v75, s[20:23], 0 offen lds               // 00000000DF60: E0511000 8005004B
	s_add_u32 m0, 0xe00, s49                                   // 00000000DF68: 807C31FF 00000E00
	v_mfma_f32_16x16x32_fp8_fp8 v[12:15], a[158:159], a[38:39], v[12:15]// 00000000DF70: D3F3000C 1C324D9E
	v_fma_f32 v96, v8, v4, v96                                 // 00000000DF78: D1CB0060 05820908
	v_fma_f32 v97, v9, v4, v97                                 // 00000000DF80: D1CB0061 05860909
	v_fma_f32 v98, v10, v4, v98                                // 00000000DF88: D1CB0062 058A090A
	v_fma_f32 v99, v11, v4, v99                                // 00000000DF90: D1CB0063 058E090B
	v_mul_f32_dpp v6, v26, v59 row_newbcast:0 row_mask:0xf bank_mask:0xf// 00000000DF98: 0A0C76FA FF01501A
	v_mfma_f32_16x16x32_fp8_fp8 v[8:11], a[144:145], a[40:41], 0// 00000000DFA0: D3F30008 1A025190
	buffer_load_dword v76, s[20:23], 0 offen lds               // 00000000DFA8: E0511000 8005004C
	s_add_u32 m0, 0xf00, s49                                   // 00000000DFB0: 807C31FF 00000F00
	v_mfma_f32_16x16x32_fp8_fp8 v[8:11], a[146:147], a[42:43], v[8:11]// 00000000DFB8: D3F30008 1C225592
	v_mfma_f32_16x16x32_fp8_fp8 v[8:11], a[148:149], a[44:45], v[8:11]// 00000000DFC0: D3F30008 1C225994
	buffer_load_dword v77, s[20:23], 0 offen lds               // 00000000DFC8: E0511000 8005004D
	s_add_u32 m0, 0, s50                                       // 00000000DFD0: 807C3280
	v_mfma_f32_16x16x32_fp8_fp8 v[8:11], a[150:151], a[46:47], v[8:11]// 00000000DFD4: D3F30008 1C225D96
	v_fma_f32 v128, v12, v4, v128                              // 00000000DFDC: D1CB0080 0602090C
	v_fma_f32 v129, v13, v4, v129                              // 00000000DFE4: D1CB0081 0606090D
	v_fma_f32 v130, v14, v4, v130                              // 00000000DFEC: D1CB0082 060A090E
	v_fma_f32 v131, v15, v4, v131                              // 00000000DFF4: D1CB0083 060E090F
	v_mfma_f32_16x16x32_fp8_fp8 v[12:15], a[152:153], a[40:41], 0// 00000000DFFC: D3F3000C 1A025198
	buffer_load_dword v46, v30, s[28:31], 0 offen              // 00000000E004: E0501000 80072E1E
	v_mfma_f32_16x16x32_fp8_fp8 v[12:15], a[154:155], a[42:43], v[12:15]// 00000000E00C: D3F3000C 1C32559A
	v_mfma_f32_16x16x32_fp8_fp8 v[12:15], a[156:157], a[44:45], v[12:15]// 00000000E014: D3F3000C 1C32599C
	buffer_load_dword v47, v31, s[28:31], 0 offen              // 00000000E01C: E0501000 80072F1F
	v_mfma_f32_16x16x32_fp8_fp8 v[12:15], a[158:159], a[46:47], v[12:15]// 00000000E024: D3F3000C 1C325D9E
	v_fma_f32 v100, v8, v6, v100                               // 00000000E02C: D1CB0064 05920D08
	v_fma_f32 v101, v9, v6, v101                               // 00000000E034: D1CB0065 05960D09
	v_fma_f32 v102, v10, v6, v102                              // 00000000E03C: D1CB0066 059A0D0A
	v_fma_f32 v103, v11, v6, v103                              // 00000000E044: D1CB0067 059E0D0B
	v_mul_f32_dpp v4, v26, v60 row_newbcast:0 row_mask:0xf bank_mask:0xf// 00000000E04C: 0A0878FA FF01501A
	v_mfma_f32_16x16x32_fp8_fp8 v[8:11], a[144:145], a[48:49], 0// 00000000E054: D3F30008 1A026190
	buffer_load_dword v48, v32, s[28:31], 0 offen              // 00000000E05C: E0501000 80073020
	v_mfma_f32_16x16x32_fp8_fp8 v[8:11], a[146:147], a[50:51], v[8:11]// 00000000E064: D3F30008 1C226592
	v_mfma_f32_16x16x32_fp8_fp8 v[8:11], a[148:149], a[52:53], v[8:11]// 00000000E06C: D3F30008 1C226994
	buffer_load_dword v49, v33, s[28:31], 0 offen              // 00000000E074: E0501000 80073121
	v_mfma_f32_16x16x32_fp8_fp8 v[8:11], a[150:151], a[54:55], v[8:11]// 00000000E07C: D3F30008 1C226D96
	v_fma_f32 v132, v12, v6, v132                              // 00000000E084: D1CB0084 06120D0C
	v_fma_f32 v133, v13, v6, v133                              // 00000000E08C: D1CB0085 06160D0D
	v_fma_f32 v134, v14, v6, v134                              // 00000000E094: D1CB0086 061A0D0E
	v_fma_f32 v135, v15, v6, v135                              // 00000000E09C: D1CB0087 061E0D0F
	v_mfma_f32_16x16x32_fp8_fp8 v[12:15], a[152:153], a[48:49], 0// 00000000E0A4: D3F3000C 1A026198
	buffer_load_dword v50, v34, s[28:31], 0 offen              // 00000000E0AC: E0501000 80073222
	v_mfma_f32_16x16x32_fp8_fp8 v[12:15], a[154:155], a[50:51], v[12:15]// 00000000E0B4: D3F3000C 1C32659A
	v_mfma_f32_16x16x32_fp8_fp8 v[12:15], a[156:157], a[52:53], v[12:15]// 00000000E0BC: D3F3000C 1C32699C
	buffer_load_dword v51, v35, s[28:31], 0 offen              // 00000000E0C4: E0501000 80073323
	v_mfma_f32_16x16x32_fp8_fp8 v[12:15], a[158:159], a[54:55], v[12:15]// 00000000E0CC: D3F3000C 1C326D9E
	v_fma_f32 v104, v8, v4, v104                               // 00000000E0D4: D1CB0068 05A20908
	v_fma_f32 v105, v9, v4, v105                               // 00000000E0DC: D1CB0069 05A60909
	v_fma_f32 v106, v10, v4, v106                              // 00000000E0E4: D1CB006A 05AA090A
	v_fma_f32 v107, v11, v4, v107                              // 00000000E0EC: D1CB006B 05AE090B
	v_mul_f32_dpp v6, v26, v61 row_newbcast:0 row_mask:0xf bank_mask:0xf// 00000000E0F4: 0A0C7AFA FF01501A
	v_mfma_f32_16x16x32_fp8_fp8 v[8:11], a[144:145], a[56:57], 0// 00000000E0FC: D3F30008 1A027190
	buffer_load_dword v52, v36, s[28:31], 0 offen              // 00000000E104: E0501000 80073424
	v_mfma_f32_16x16x32_fp8_fp8 v[8:11], a[146:147], a[58:59], v[8:11]// 00000000E10C: D3F30008 1C227592
	v_mfma_f32_16x16x32_fp8_fp8 v[8:11], a[148:149], a[60:61], v[8:11]// 00000000E114: D3F30008 1C227994
	buffer_load_dword v53, v37, s[28:31], 0 offen              // 00000000E11C: E0501000 80073525
	v_mfma_f32_16x16x32_fp8_fp8 v[8:11], a[150:151], a[62:63], v[8:11]// 00000000E124: D3F30008 1C227D96
	v_fma_f32 v136, v12, v4, v136                              // 00000000E12C: D1CB0088 0622090C
	v_fma_f32 v137, v13, v4, v137                              // 00000000E134: D1CB0089 0626090D
	v_fma_f32 v138, v14, v4, v138                              // 00000000E13C: D1CB008A 062A090E
	v_fma_f32 v139, v15, v4, v139                              // 00000000E144: D1CB008B 062E090F
	v_mfma_f32_16x16x32_fp8_fp8 v[12:15], a[152:153], a[56:57], 0// 00000000E14C: D3F3000C 1A027198
	v_mfma_f32_16x16x32_fp8_fp8 v[12:15], a[154:155], a[58:59], v[12:15]// 00000000E154: D3F3000C 1C32759A
	v_mfma_f32_16x16x32_fp8_fp8 v[12:15], a[156:157], a[60:61], v[12:15]// 00000000E15C: D3F3000C 1C32799C
	v_mfma_f32_16x16x32_fp8_fp8 v[12:15], a[158:159], a[62:63], v[12:15]// 00000000E164: D3F3000C 1C327D9E
	v_fma_f32 v108, v8, v6, v108                               // 00000000E16C: D1CB006C 05B20D08
	v_fma_f32 v109, v9, v6, v109                               // 00000000E174: D1CB006D 05B60D09
	v_fma_f32 v110, v10, v6, v110                              // 00000000E17C: D1CB006E 05BA0D0A
	v_fma_f32 v111, v11, v6, v111                              // 00000000E184: D1CB006F 05BE0D0B
	v_fma_f32 v140, v12, v6, v140                              // 00000000E18C: D1CB008C 06320D0C
	v_fma_f32 v141, v13, v6, v141                              // 00000000E194: D1CB008D 06360D0D
	v_fma_f32 v142, v14, v6, v142                              // 00000000E19C: D1CB008E 063A0D0E
	v_fma_f32 v143, v15, v6, v143                              // 00000000E1A4: D1CB008F 063E0D0F
	s_waitcnt vmcnt(29)                                        // 00000000E1AC: BF8C4F7D
	s_barrier                                                  // 00000000E1B0: BF8A0000
	v_mul_f32_dpp v4, v29, v54 row_newbcast:0 row_mask:0xf bank_mask:0xf// 00000000E1B4: 0A086CFA FF01501D
	v_mfma_f32_16x16x32_fp8_fp8 v[8:11], a[160:161], a[0:1], 0 // 00000000E1BC: D3F30008 1A0201A0
	buffer_load_dword v27, v23, s[32:35], 0 offen              // 00000000E1C4: E0501000 80081B17
	buffer_load_dwordx4 a[144:147], v78, s[84:87], 0 offen     // 00000000E1CC: E05C1000 8095904E
	v_mfma_f32_16x16x32_fp8_fp8 v[8:11], a[162:163], a[2:3], v[8:11]// 00000000E1D4: D3F30008 1C2205A2
	v_mfma_f32_16x16x32_fp8_fp8 v[8:11], a[164:165], a[4:5], v[8:11]// 00000000E1DC: D3F30008 1C2209A4
	ds_read_b128 a[64:67], v2                                  // 00000000E1E4: DBFE0000 40000002
	ds_read_b128 a[68:71], v2 offset:64                        // 00000000E1EC: DBFE0040 44000002
	v_mfma_f32_16x16x32_fp8_fp8 v[8:11], a[166:167], a[6:7], v[8:11]// 00000000E1F4: D3F30008 1C220DA6
	v_mfma_f32_16x16x32_fp8_fp8 v[12:15], a[168:169], a[0:1], 0// 00000000E1FC: D3F3000C 1A0201A8
	buffer_load_dwordx4 a[148:151], v78, s[84:87], 0 offen offset:1024// 00000000E204: E05C1400 8095944E
	v_mfma_f32_16x16x32_fp8_fp8 v[12:15], a[170:171], a[2:3], v[12:15]// 00000000E20C: D3F3000C 1C3205AA
	v_mfma_f32_16x16x32_fp8_fp8 v[12:15], a[172:173], a[4:5], v[12:15]// 00000000E214: D3F3000C 1C3209AC
	ds_read_b128 a[72:75], v2 offset:512                       // 00000000E21C: DBFE0200 48000002
	ds_read_b128 a[76:79], v2 offset:576                       // 00000000E224: DBFE0240 4C000002
	v_mfma_f32_16x16x32_fp8_fp8 v[12:15], a[174:175], a[6:7], v[12:15]// 00000000E22C: D3F3000C 1C320DAE
	v_fma_f32 v144, v8, v4, v144                               // 00000000E234: D1CB0090 06420908
	v_fma_f32 v145, v9, v4, v145                               // 00000000E23C: D1CB0091 06460909
	v_fma_f32 v146, v10, v4, v146                              // 00000000E244: D1CB0092 064A090A
	v_fma_f32 v147, v11, v4, v147                              // 00000000E24C: D1CB0093 064E090B
	v_mul_f32_dpp v6, v29, v55 row_newbcast:0 row_mask:0xf bank_mask:0xf// 00000000E254: 0A0C6EFA FF01501D
	v_mfma_f32_16x16x32_fp8_fp8 v[8:11], a[160:161], a[8:9], 0 // 00000000E25C: D3F30008 1A0211A0
	buffer_load_dwordx4 a[152:155], v79, s[84:87], 0 offen     // 00000000E264: E05C1000 8095984F
	v_mfma_f32_16x16x32_fp8_fp8 v[8:11], a[162:163], a[10:11], v[8:11]// 00000000E26C: D3F30008 1C2215A2
	v_mfma_f32_16x16x32_fp8_fp8 v[8:11], a[164:165], a[12:13], v[8:11]// 00000000E274: D3F30008 1C2219A4
	ds_read_b128 a[80:83], v2 offset:1024                      // 00000000E27C: DBFE0400 50000002
	ds_read_b128 a[84:87], v2 offset:1088                      // 00000000E284: DBFE0440 54000002
	v_mfma_f32_16x16x32_fp8_fp8 v[8:11], a[166:167], a[14:15], v[8:11]// 00000000E28C: D3F30008 1C221DA6
	v_fma_f32 v176, v12, v4, v176                              // 00000000E294: D1CB00B0 06C2090C
	v_fma_f32 v177, v13, v4, v177                              // 00000000E29C: D1CB00B1 06C6090D
	v_fma_f32 v178, v14, v4, v178                              // 00000000E2A4: D1CB00B2 06CA090E
	v_fma_f32 v179, v15, v4, v179                              // 00000000E2AC: D1CB00B3 06CE090F
	v_mfma_f32_16x16x32_fp8_fp8 v[12:15], a[168:169], a[8:9], 0// 00000000E2B4: D3F3000C 1A0211A8
	buffer_load_dwordx4 a[156:159], v79, s[84:87], 0 offen offset:1024// 00000000E2BC: E05C1400 80959C4F
	v_mfma_f32_16x16x32_fp8_fp8 v[12:15], a[170:171], a[10:11], v[12:15]// 00000000E2C4: D3F3000C 1C3215AA
	v_mfma_f32_16x16x32_fp8_fp8 v[12:15], a[172:173], a[12:13], v[12:15]// 00000000E2CC: D3F3000C 1C3219AC
	ds_read_b128 a[88:91], v2 offset:1536                      // 00000000E2D4: DBFE0600 58000002
	ds_read_b128 a[92:95], v2 offset:1600                      // 00000000E2DC: DBFE0640 5C000002
	v_mfma_f32_16x16x32_fp8_fp8 v[12:15], a[174:175], a[14:15], v[12:15]// 00000000E2E4: D3F3000C 1C321DAE
	v_fma_f32 v148, v8, v6, v148                               // 00000000E2EC: D1CB0094 06520D08
	v_fma_f32 v149, v9, v6, v149                               // 00000000E2F4: D1CB0095 06560D09
	v_fma_f32 v150, v10, v6, v150                              // 00000000E2FC: D1CB0096 065A0D0A
	v_fma_f32 v151, v11, v6, v151                              // 00000000E304: D1CB0097 065E0D0B
	v_mul_f32_dpp v4, v29, v56 row_newbcast:0 row_mask:0xf bank_mask:0xf// 00000000E30C: 0A0870FA FF01501D
	v_mfma_f32_16x16x32_fp8_fp8 v[8:11], a[160:161], a[16:17], 0// 00000000E314: D3F30008 1A0221A0
	v_mfma_f32_16x16x32_fp8_fp8 v[8:11], a[162:163], a[18:19], v[8:11]// 00000000E31C: D3F30008 1C2225A2
	v_mfma_f32_16x16x32_fp8_fp8 v[8:11], a[164:165], a[20:21], v[8:11]// 00000000E324: D3F30008 1C2229A4
	ds_read_b128 a[96:99], v2 offset:2048                      // 00000000E32C: DBFE0800 60000002
	ds_read_b128 a[100:103], v2 offset:2112                    // 00000000E334: DBFE0840 64000002
	v_mfma_f32_16x16x32_fp8_fp8 v[8:11], a[166:167], a[22:23], v[8:11]// 00000000E33C: D3F30008 1C222DA6
	v_fma_f32 v180, v12, v6, v180                              // 00000000E344: D1CB00B4 06D20D0C
	v_fma_f32 v181, v13, v6, v181                              // 00000000E34C: D1CB00B5 06D60D0D
	v_fma_f32 v182, v14, v6, v182                              // 00000000E354: D1CB00B6 06DA0D0E
	v_fma_f32 v183, v15, v6, v183                              // 00000000E35C: D1CB00B7 06DE0D0F
	v_mfma_f32_16x16x32_fp8_fp8 v[12:15], a[168:169], a[16:17], 0// 00000000E364: D3F3000C 1A0221A8
	v_mfma_f32_16x16x32_fp8_fp8 v[12:15], a[170:171], a[18:19], v[12:15]// 00000000E36C: D3F3000C 1C3225AA
	v_mfma_f32_16x16x32_fp8_fp8 v[12:15], a[172:173], a[20:21], v[12:15]// 00000000E374: D3F3000C 1C3229AC
	ds_read_b128 a[104:107], v2 offset:2560                    // 00000000E37C: DBFE0A00 68000002
	ds_read_b128 a[108:111], v2 offset:2624                    // 00000000E384: DBFE0A40 6C000002
	v_mfma_f32_16x16x32_fp8_fp8 v[12:15], a[174:175], a[22:23], v[12:15]// 00000000E38C: D3F3000C 1C322DAE
	v_fma_f32 v152, v8, v4, v152                               // 00000000E394: D1CB0098 06620908
	v_fma_f32 v153, v9, v4, v153                               // 00000000E39C: D1CB0099 06660909
	v_fma_f32 v154, v10, v4, v154                              // 00000000E3A4: D1CB009A 066A090A
	v_fma_f32 v155, v11, v4, v155                              // 00000000E3AC: D1CB009B 066E090B
	v_mul_f32_dpp v6, v29, v57 row_newbcast:0 row_mask:0xf bank_mask:0xf// 00000000E3B4: 0A0C72FA FF01501D
	v_mfma_f32_16x16x32_fp8_fp8 v[8:11], a[160:161], a[24:25], 0// 00000000E3BC: D3F30008 1A0231A0
	v_mfma_f32_16x16x32_fp8_fp8 v[8:11], a[162:163], a[26:27], v[8:11]// 00000000E3C4: D3F30008 1C2235A2
	v_mfma_f32_16x16x32_fp8_fp8 v[8:11], a[164:165], a[28:29], v[8:11]// 00000000E3CC: D3F30008 1C2239A4
	ds_read_b128 a[112:115], v2 offset:3072                    // 00000000E3D4: DBFE0C00 70000002
	ds_read_b128 a[116:119], v2 offset:3136                    // 00000000E3DC: DBFE0C40 74000002
	v_mfma_f32_16x16x32_fp8_fp8 v[8:11], a[166:167], a[30:31], v[8:11]// 00000000E3E4: D3F30008 1C223DA6
	v_fma_f32 v184, v12, v4, v184                              // 00000000E3EC: D1CB00B8 06E2090C
	v_fma_f32 v185, v13, v4, v185                              // 00000000E3F4: D1CB00B9 06E6090D
	v_fma_f32 v186, v14, v4, v186                              // 00000000E3FC: D1CB00BA 06EA090E
	v_fma_f32 v187, v15, v4, v187                              // 00000000E404: D1CB00BB 06EE090F
	v_mfma_f32_16x16x32_fp8_fp8 v[12:15], a[168:169], a[24:25], 0// 00000000E40C: D3F3000C 1A0231A8
	v_mfma_f32_16x16x32_fp8_fp8 v[12:15], a[170:171], a[26:27], v[12:15]// 00000000E414: D3F3000C 1C3235AA
	v_mfma_f32_16x16x32_fp8_fp8 v[12:15], a[172:173], a[28:29], v[12:15]// 00000000E41C: D3F3000C 1C3239AC
	ds_read_b128 a[120:123], v2 offset:3584                    // 00000000E424: DBFE0E00 78000002
	ds_read_b128 a[124:127], v2 offset:3648                    // 00000000E42C: DBFE0E40 7C000002
	v_mfma_f32_16x16x32_fp8_fp8 v[12:15], a[174:175], a[30:31], v[12:15]// 00000000E434: D3F3000C 1C323DAE
	v_fma_f32 v156, v8, v6, v156                               // 00000000E43C: D1CB009C 06720D08
	v_fma_f32 v157, v9, v6, v157                               // 00000000E444: D1CB009D 06760D09
	v_fma_f32 v158, v10, v6, v158                              // 00000000E44C: D1CB009E 067A0D0A
	v_fma_f32 v159, v11, v6, v159                              // 00000000E454: D1CB009F 067E0D0B
	v_mul_f32_dpp v4, v29, v58 row_newbcast:0 row_mask:0xf bank_mask:0xf// 00000000E45C: 0A0874FA FF01501D
	v_mfma_f32_16x16x32_fp8_fp8 v[8:11], a[160:161], a[32:33], 0// 00000000E464: D3F30008 1A0241A0
	v_mfma_f32_16x16x32_fp8_fp8 v[8:11], a[162:163], a[34:35], v[8:11]// 00000000E46C: D3F30008 1C2245A2
	v_mfma_f32_16x16x32_fp8_fp8 v[8:11], a[164:165], a[36:37], v[8:11]// 00000000E474: D3F30008 1C2249A4
	v_mfma_f32_16x16x32_fp8_fp8 v[8:11], a[166:167], a[38:39], v[8:11]// 00000000E47C: D3F30008 1C224DA6
	v_fma_f32 v188, v12, v6, v188                              // 00000000E484: D1CB00BC 06F20D0C
	v_fma_f32 v189, v13, v6, v189                              // 00000000E48C: D1CB00BD 06F60D0D
	v_fma_f32 v190, v14, v6, v190                              // 00000000E494: D1CB00BE 06FA0D0E
	v_fma_f32 v191, v15, v6, v191                              // 00000000E49C: D1CB00BF 06FE0D0F
	v_mfma_f32_16x16x32_fp8_fp8 v[12:15], a[168:169], a[32:33], 0// 00000000E4A4: D3F3000C 1A0241A8
	v_mfma_f32_16x16x32_fp8_fp8 v[12:15], a[170:171], a[34:35], v[12:15]// 00000000E4AC: D3F3000C 1C3245AA
	v_mfma_f32_16x16x32_fp8_fp8 v[12:15], a[172:173], a[36:37], v[12:15]// 00000000E4B4: D3F3000C 1C3249AC
	v_mfma_f32_16x16x32_fp8_fp8 v[12:15], a[174:175], a[38:39], v[12:15]// 00000000E4BC: D3F3000C 1C324DAE
	v_fma_f32 v160, v8, v4, v160                               // 00000000E4C4: D1CB00A0 06820908
	v_fma_f32 v161, v9, v4, v161                               // 00000000E4CC: D1CB00A1 06860909
	v_fma_f32 v162, v10, v4, v162                              // 00000000E4D4: D1CB00A2 068A090A
	v_fma_f32 v163, v11, v4, v163                              // 00000000E4DC: D1CB00A3 068E090B
	v_mul_f32_dpp v6, v29, v59 row_newbcast:0 row_mask:0xf bank_mask:0xf// 00000000E4E4: 0A0C76FA FF01501D
	v_mfma_f32_16x16x32_fp8_fp8 v[8:11], a[160:161], a[40:41], 0// 00000000E4EC: D3F30008 1A0251A0
	v_mfma_f32_16x16x32_fp8_fp8 v[8:11], a[162:163], a[42:43], v[8:11]// 00000000E4F4: D3F30008 1C2255A2
	v_mfma_f32_16x16x32_fp8_fp8 v[8:11], a[164:165], a[44:45], v[8:11]// 00000000E4FC: D3F30008 1C2259A4
	v_mfma_f32_16x16x32_fp8_fp8 v[8:11], a[166:167], a[46:47], v[8:11]// 00000000E504: D3F30008 1C225DA6
	v_fma_f32 v192, v12, v4, v192                              // 00000000E50C: D1CB00C0 0702090C
	v_fma_f32 v193, v13, v4, v193                              // 00000000E514: D1CB00C1 0706090D
	v_fma_f32 v194, v14, v4, v194                              // 00000000E51C: D1CB00C2 070A090E
	v_fma_f32 v195, v15, v4, v195                              // 00000000E524: D1CB00C3 070E090F
	v_mfma_f32_16x16x32_fp8_fp8 v[12:15], a[168:169], a[40:41], 0// 00000000E52C: D3F3000C 1A0251A8
	v_mfma_f32_16x16x32_fp8_fp8 v[12:15], a[170:171], a[42:43], v[12:15]// 00000000E534: D3F3000C 1C3255AA
	v_mfma_f32_16x16x32_fp8_fp8 v[12:15], a[172:173], a[44:45], v[12:15]// 00000000E53C: D3F3000C 1C3259AC
	v_mfma_f32_16x16x32_fp8_fp8 v[12:15], a[174:175], a[46:47], v[12:15]// 00000000E544: D3F3000C 1C325DAE
	v_fma_f32 v164, v8, v6, v164                               // 00000000E54C: D1CB00A4 06920D08
	v_fma_f32 v165, v9, v6, v165                               // 00000000E554: D1CB00A5 06960D09
	v_fma_f32 v166, v10, v6, v166                              // 00000000E55C: D1CB00A6 069A0D0A
	v_fma_f32 v167, v11, v6, v167                              // 00000000E564: D1CB00A7 069E0D0B
	v_mul_f32_dpp v4, v29, v60 row_newbcast:0 row_mask:0xf bank_mask:0xf// 00000000E56C: 0A0878FA FF01501D
	v_mfma_f32_16x16x32_fp8_fp8 v[8:11], a[160:161], a[48:49], 0// 00000000E574: D3F30008 1A0261A0
	v_mfma_f32_16x16x32_fp8_fp8 v[8:11], a[162:163], a[50:51], v[8:11]// 00000000E57C: D3F30008 1C2265A2
	v_mfma_f32_16x16x32_fp8_fp8 v[8:11], a[164:165], a[52:53], v[8:11]// 00000000E584: D3F30008 1C2269A4
	v_mfma_f32_16x16x32_fp8_fp8 v[8:11], a[166:167], a[54:55], v[8:11]// 00000000E58C: D3F30008 1C226DA6
	v_fma_f32 v196, v12, v6, v196                              // 00000000E594: D1CB00C4 07120D0C
	v_fma_f32 v197, v13, v6, v197                              // 00000000E59C: D1CB00C5 07160D0D
	v_fma_f32 v198, v14, v6, v198                              // 00000000E5A4: D1CB00C6 071A0D0E
	v_fma_f32 v199, v15, v6, v199                              // 00000000E5AC: D1CB00C7 071E0D0F
	v_mfma_f32_16x16x32_fp8_fp8 v[12:15], a[168:169], a[48:49], 0// 00000000E5B4: D3F3000C 1A0261A8
	v_mfma_f32_16x16x32_fp8_fp8 v[12:15], a[170:171], a[50:51], v[12:15]// 00000000E5BC: D3F3000C 1C3265AA
	v_mfma_f32_16x16x32_fp8_fp8 v[12:15], a[172:173], a[52:53], v[12:15]// 00000000E5C4: D3F3000C 1C3269AC
	v_mfma_f32_16x16x32_fp8_fp8 v[12:15], a[174:175], a[54:55], v[12:15]// 00000000E5CC: D3F3000C 1C326DAE
	v_fma_f32 v168, v8, v4, v168                               // 00000000E5D4: D1CB00A8 06A20908
	v_fma_f32 v169, v9, v4, v169                               // 00000000E5DC: D1CB00A9 06A60909
	v_fma_f32 v170, v10, v4, v170                              // 00000000E5E4: D1CB00AA 06AA090A
	v_fma_f32 v171, v11, v4, v171                              // 00000000E5EC: D1CB00AB 06AE090B
	v_mul_f32_dpp v6, v29, v61 row_newbcast:0 row_mask:0xf bank_mask:0xf// 00000000E5F4: 0A0C7AFA FF01501D
	v_mfma_f32_16x16x32_fp8_fp8 v[8:11], a[160:161], a[56:57], 0// 00000000E5FC: D3F30008 1A0271A0
	s_add_u32 s60, 0x180, s80                                  // 00000000E604: 803C50FF 00000180
	s_cmp_lt_u32 s60, s81                                      // 00000000E60C: BF0A513C
	s_cselect_b32 s57, s57, 0                                  // 00000000E610: 85398039
	s_cselect_b32 s3, s3, 0                                    // 00000000E614: 85038003
	v_mfma_f32_16x16x32_fp8_fp8 v[8:11], a[162:163], a[58:59], v[8:11]// 00000000E618: D3F30008 1C2275A2
	s_add_u32 s60, 0x100, s80                                  // 00000000E620: 803C50FF 00000100
	s_cmp_lt_u32 s60, s81                                      // 00000000E628: BF0A513C
	s_cselect_b32 s58, s58, 0                                  // 00000000E62C: 853A803A
	v_mfma_f32_16x16x32_fp8_fp8 v[8:11], a[164:165], a[60:61], v[8:11]// 00000000E630: D3F30008 1C2279A4
	s_add_u32 s60, 0x100, s80                                  // 00000000E638: 803C50FF 00000100
	s_cmp_lt_u32 s60, s81                                      // 00000000E640: BF0A513C
	s_cselect_b32 s83, s83, 0                                  // 00000000E644: 85538053
	s_cselect_b32 s4, s4, 0                                    // 00000000E648: 85048004
	v_mfma_f32_16x16x32_fp8_fp8 v[8:11], a[166:167], a[62:63], v[8:11]// 00000000E64C: D3F30008 1C227DA6
	s_add_u32 s24, s58, s24                                    // 00000000E654: 8018183A
	s_addc_u32 s25, 0, s25                                     // 00000000E658: 82191980
	v_fma_f32 v200, v12, v4, v200                              // 00000000E65C: D1CB00C8 0722090C
	v_fma_f32 v201, v13, v4, v201                              // 00000000E664: D1CB00C9 0726090D
	v_fma_f32 v202, v14, v4, v202                              // 00000000E66C: D1CB00CA 072A090E
	v_fma_f32 v203, v15, v4, v203                              // 00000000E674: D1CB00CB 072E090F
	v_mfma_f32_16x16x32_fp8_fp8 v[12:15], a[168:169], a[56:57], 0// 00000000E67C: D3F3000C 1A0271A8
	s_add_u32 s20, s57, s20                                    // 00000000E684: 80141439
	s_addc_u32 s21, 0, s21                                     // 00000000E688: 82151580
	s_add_u32 s28, s3, s28                                     // 00000000E68C: 801C1C03
	s_addc_u32 s29, 0, s29                                     // 00000000E690: 821D1D80
	v_mfma_f32_16x16x32_fp8_fp8 v[12:15], a[170:171], a[58:59], v[12:15]// 00000000E694: D3F3000C 1C3275AA
	s_add_u32 s84, s83, s84                                    // 00000000E69C: 80545453
	s_addc_u32 s85, 0, s85                                     // 00000000E6A0: 82555580
	v_mfma_f32_16x16x32_fp8_fp8 v[12:15], a[172:173], a[60:61], v[12:15]// 00000000E6A4: D3F3000C 1C3279AC
	s_add_u32 s32, s4, s32                                     // 00000000E6AC: 80202004
	s_addc_u32 s33, 0, s33                                     // 00000000E6B0: 82212180
	v_mfma_f32_16x16x32_fp8_fp8 v[12:15], a[174:175], a[62:63], v[12:15]// 00000000E6B4: D3F3000C 1C327DAE
	v_fma_f32 v172, v8, v6, v172                               // 00000000E6BC: D1CB00AC 06B20D08
	v_fma_f32 v173, v9, v6, v173                               // 00000000E6C4: D1CB00AD 06B60D09
	v_fma_f32 v174, v10, v6, v174                              // 00000000E6CC: D1CB00AE 06BA0D0A
	v_fma_f32 v175, v11, v6, v175                              // 00000000E6D4: D1CB00AF 06BE0D0B
	v_fma_f32 v204, v12, v6, v204                              // 00000000E6DC: D1CB00CC 07320D0C
	v_fma_f32 v205, v13, v6, v205                              // 00000000E6E4: D1CB00CD 07360D0D
	v_fma_f32 v206, v14, v6, v206                              // 00000000E6EC: D1CB00CE 073A0D0E
	v_fma_f32 v207, v15, v6, v207                              // 00000000E6F4: D1CB00CF 073E0D0F
	s_addk_i32 s80, 0x80                                       // 00000000E6FC: B7500080
	s_cmp_lt_i32 s80, s81                                      // 00000000E700: BF045150
	s_cbranch_scc0 label_3789                                  // 00000000E704: BF840844
	s_waitcnt vmcnt(29) lgkmcnt(0)                             // 00000000E708: BF8C407D
	v_mul_f32_dpp v4, v24, v38 row_newbcast:0 row_mask:0xf bank_mask:0xf// 00000000E70C: 0A084CFA FF015018
	v_mfma_f32_16x16x32_fp8_fp8 v[8:11], a[128:129], a[64:65], 0// 00000000E714: D3F30008 1A028180
	buffer_load_dword v25, v22, s[32:35], 0 offen              // 00000000E71C: E0501000 80081916
	buffer_load_dwordx4 a[160:163], v78, s[24:27], 0 offen     // 00000000E724: E05C1000 8086A04E
	v_mfma_f32_16x16x32_fp8_fp8 v[8:11], a[130:131], a[66:67], v[8:11]// 00000000E72C: D3F30008 1C228582
	v_mfma_f32_16x16x32_fp8_fp8 v[8:11], a[132:133], a[68:69], v[8:11]// 00000000E734: D3F30008 1C228984
	v_mfma_f32_16x16x32_fp8_fp8 v[8:11], a[134:135], a[70:71], v[8:11]// 00000000E73C: D3F30008 1C228D86
	v_mfma_f32_16x16x32_fp8_fp8 v[12:15], a[136:137], a[64:65], 0// 00000000E744: D3F3000C 1A028188
	buffer_load_dwordx4 a[164:167], v78, s[24:27], 0 offen offset:1024// 00000000E74C: E05C1400 8086A44E
	v_mfma_f32_16x16x32_fp8_fp8 v[12:15], a[138:139], a[66:67], v[12:15]// 00000000E754: D3F3000C 1C32858A
	v_mfma_f32_16x16x32_fp8_fp8 v[12:15], a[140:141], a[68:69], v[12:15]// 00000000E75C: D3F3000C 1C32898C
	v_mfma_f32_16x16x32_fp8_fp8 v[12:15], a[142:143], a[70:71], v[12:15]// 00000000E764: D3F3000C 1C328D8E
	v_fma_f32 v80, v8, v4, v80                                 // 00000000E76C: D1CB0050 05420908
	v_fma_f32 v81, v9, v4, v81                                 // 00000000E774: D1CB0051 05460909
	v_fma_f32 v82, v10, v4, v82                                // 00000000E77C: D1CB0052 054A090A
	v_fma_f32 v83, v11, v4, v83                                // 00000000E784: D1CB0053 054E090B
	v_mul_f32_dpp v6, v24, v39 row_newbcast:0 row_mask:0xf bank_mask:0xf// 00000000E78C: 0A0C4EFA FF015018
	v_mfma_f32_16x16x32_fp8_fp8 v[8:11], a[128:129], a[72:73], 0// 00000000E794: D3F30008 1A029180
	buffer_load_dwordx4 a[168:171], v79, s[24:27], 0 offen     // 00000000E79C: E05C1000 8086A84F
	v_mfma_f32_16x16x32_fp8_fp8 v[8:11], a[130:131], a[74:75], v[8:11]// 00000000E7A4: D3F30008 1C229582
	v_mfma_f32_16x16x32_fp8_fp8 v[8:11], a[132:133], a[76:77], v[8:11]// 00000000E7AC: D3F30008 1C229984
	v_mfma_f32_16x16x32_fp8_fp8 v[8:11], a[134:135], a[78:79], v[8:11]// 00000000E7B4: D3F30008 1C229D86
	v_fma_f32 v112, v12, v4, v112                              // 00000000E7BC: D1CB0070 05C2090C
	v_fma_f32 v113, v13, v4, v113                              // 00000000E7C4: D1CB0071 05C6090D
	v_fma_f32 v114, v14, v4, v114                              // 00000000E7CC: D1CB0072 05CA090E
	v_fma_f32 v115, v15, v4, v115                              // 00000000E7D4: D1CB0073 05CE090F
	v_mfma_f32_16x16x32_fp8_fp8 v[12:15], a[136:137], a[72:73], 0// 00000000E7DC: D3F3000C 1A029188
	buffer_load_dwordx4 a[172:175], v79, s[24:27], 0 offen offset:1024// 00000000E7E4: E05C1400 8086AC4F
	buffer_load_dword v62, s[20:23], 0 offen lds               // 00000000E7EC: E0511000 8005003E
	s_add_u32 m0, 0x100, s50                                   // 00000000E7F4: 807C32FF 00000100
	v_mfma_f32_16x16x32_fp8_fp8 v[12:15], a[138:139], a[74:75], v[12:15]// 00000000E7FC: D3F3000C 1C32958A
	v_mfma_f32_16x16x32_fp8_fp8 v[12:15], a[140:141], a[76:77], v[12:15]// 00000000E804: D3F3000C 1C32998C
	buffer_load_dword v63, s[20:23], 0 offen lds               // 00000000E80C: E0511000 8005003F
	s_add_u32 m0, 0x200, s50                                   // 00000000E814: 807C32FF 00000200
	v_mfma_f32_16x16x32_fp8_fp8 v[12:15], a[142:143], a[78:79], v[12:15]// 00000000E81C: D3F3000C 1C329D8E
	v_fma_f32 v84, v8, v6, v84                                 // 00000000E824: D1CB0054 05520D08
	v_fma_f32 v85, v9, v6, v85                                 // 00000000E82C: D1CB0055 05560D09
	v_fma_f32 v86, v10, v6, v86                                // 00000000E834: D1CB0056 055A0D0A
	v_fma_f32 v87, v11, v6, v87                                // 00000000E83C: D1CB0057 055E0D0B
	v_mul_f32_dpp v4, v24, v40 row_newbcast:0 row_mask:0xf bank_mask:0xf// 00000000E844: 0A0850FA FF015018
	v_mfma_f32_16x16x32_fp8_fp8 v[8:11], a[128:129], a[80:81], 0// 00000000E84C: D3F30008 1A02A180
	buffer_load_dword v64, s[20:23], 0 offen lds               // 00000000E854: E0511000 80050040
	s_add_u32 m0, 0x300, s50                                   // 00000000E85C: 807C32FF 00000300
	v_mfma_f32_16x16x32_fp8_fp8 v[8:11], a[130:131], a[82:83], v[8:11]// 00000000E864: D3F30008 1C22A582
	v_mfma_f32_16x16x32_fp8_fp8 v[8:11], a[132:133], a[84:85], v[8:11]// 00000000E86C: D3F30008 1C22A984
	buffer_load_dword v65, s[20:23], 0 offen lds               // 00000000E874: E0511000 80050041
	s_add_u32 m0, 0x400, s50                                   // 00000000E87C: 807C32FF 00000400
	v_mfma_f32_16x16x32_fp8_fp8 v[8:11], a[134:135], a[86:87], v[8:11]// 00000000E884: D3F30008 1C22AD86
	v_fma_f32 v116, v12, v6, v116                              // 00000000E88C: D1CB0074 05D20D0C
	v_fma_f32 v117, v13, v6, v117                              // 00000000E894: D1CB0075 05D60D0D
	v_fma_f32 v118, v14, v6, v118                              // 00000000E89C: D1CB0076 05DA0D0E
	v_fma_f32 v119, v15, v6, v119                              // 00000000E8A4: D1CB0077 05DE0D0F
	v_mfma_f32_16x16x32_fp8_fp8 v[12:15], a[136:137], a[80:81], 0// 00000000E8AC: D3F3000C 1A02A188
	buffer_load_dword v66, s[20:23], 0 offen lds               // 00000000E8B4: E0511000 80050042
	s_add_u32 m0, 0x500, s50                                   // 00000000E8BC: 807C32FF 00000500
	v_mfma_f32_16x16x32_fp8_fp8 v[12:15], a[138:139], a[82:83], v[12:15]// 00000000E8C4: D3F3000C 1C32A58A
	v_mfma_f32_16x16x32_fp8_fp8 v[12:15], a[140:141], a[84:85], v[12:15]// 00000000E8CC: D3F3000C 1C32A98C
	buffer_load_dword v67, s[20:23], 0 offen lds               // 00000000E8D4: E0511000 80050043
	s_add_u32 m0, 0x600, s50                                   // 00000000E8DC: 807C32FF 00000600
	v_mfma_f32_16x16x32_fp8_fp8 v[12:15], a[142:143], a[86:87], v[12:15]// 00000000E8E4: D3F3000C 1C32AD8E
	v_fma_f32 v88, v8, v4, v88                                 // 00000000E8EC: D1CB0058 05620908
	v_fma_f32 v89, v9, v4, v89                                 // 00000000E8F4: D1CB0059 05660909
	v_fma_f32 v90, v10, v4, v90                                // 00000000E8FC: D1CB005A 056A090A
	v_fma_f32 v91, v11, v4, v91                                // 00000000E904: D1CB005B 056E090B
	v_mul_f32_dpp v6, v24, v41 row_newbcast:0 row_mask:0xf bank_mask:0xf// 00000000E90C: 0A0C52FA FF015018
	v_mfma_f32_16x16x32_fp8_fp8 v[8:11], a[128:129], a[88:89], 0// 00000000E914: D3F30008 1A02B180
	buffer_load_dword v68, s[20:23], 0 offen lds               // 00000000E91C: E0511000 80050044
	s_add_u32 m0, 0x700, s50                                   // 00000000E924: 807C32FF 00000700
	v_mfma_f32_16x16x32_fp8_fp8 v[8:11], a[130:131], a[90:91], v[8:11]// 00000000E92C: D3F30008 1C22B582
	v_mfma_f32_16x16x32_fp8_fp8 v[8:11], a[132:133], a[92:93], v[8:11]// 00000000E934: D3F30008 1C22B984
	buffer_load_dword v69, s[20:23], 0 offen lds               // 00000000E93C: E0511000 80050045
	s_add_u32 m0, 0x800, s50                                   // 00000000E944: 807C32FF 00000800
	v_mfma_f32_16x16x32_fp8_fp8 v[8:11], a[134:135], a[94:95], v[8:11]// 00000000E94C: D3F30008 1C22BD86
	v_fma_f32 v120, v12, v4, v120                              // 00000000E954: D1CB0078 05E2090C
	v_fma_f32 v121, v13, v4, v121                              // 00000000E95C: D1CB0079 05E6090D
	v_fma_f32 v122, v14, v4, v122                              // 00000000E964: D1CB007A 05EA090E
	v_fma_f32 v123, v15, v4, v123                              // 00000000E96C: D1CB007B 05EE090F
	v_mfma_f32_16x16x32_fp8_fp8 v[12:15], a[136:137], a[88:89], 0// 00000000E974: D3F3000C 1A02B188
	buffer_load_dword v70, s[20:23], 0 offen lds               // 00000000E97C: E0511000 80050046
	s_add_u32 m0, 0x900, s50                                   // 00000000E984: 807C32FF 00000900
	v_mfma_f32_16x16x32_fp8_fp8 v[12:15], a[138:139], a[90:91], v[12:15]// 00000000E98C: D3F3000C 1C32B58A
	v_mfma_f32_16x16x32_fp8_fp8 v[12:15], a[140:141], a[92:93], v[12:15]// 00000000E994: D3F3000C 1C32B98C
	buffer_load_dword v71, s[20:23], 0 offen lds               // 00000000E99C: E0511000 80050047
	s_add_u32 m0, 0xa00, s50                                   // 00000000E9A4: 807C32FF 00000A00
	v_mfma_f32_16x16x32_fp8_fp8 v[12:15], a[142:143], a[94:95], v[12:15]// 00000000E9AC: D3F3000C 1C32BD8E
	v_fma_f32 v92, v8, v6, v92                                 // 00000000E9B4: D1CB005C 05720D08
	v_fma_f32 v93, v9, v6, v93                                 // 00000000E9BC: D1CB005D 05760D09
	v_fma_f32 v94, v10, v6, v94                                // 00000000E9C4: D1CB005E 057A0D0A
	v_fma_f32 v95, v11, v6, v95                                // 00000000E9CC: D1CB005F 057E0D0B
	v_mul_f32_dpp v4, v24, v42 row_newbcast:0 row_mask:0xf bank_mask:0xf// 00000000E9D4: 0A0854FA FF015018
	v_mfma_f32_16x16x32_fp8_fp8 v[8:11], a[128:129], a[96:97], 0// 00000000E9DC: D3F30008 1A02C180
	buffer_load_dword v72, s[20:23], 0 offen lds               // 00000000E9E4: E0511000 80050048
	s_add_u32 m0, 0xb00, s50                                   // 00000000E9EC: 807C32FF 00000B00
	v_mfma_f32_16x16x32_fp8_fp8 v[8:11], a[130:131], a[98:99], v[8:11]// 00000000E9F4: D3F30008 1C22C582
	v_mfma_f32_16x16x32_fp8_fp8 v[8:11], a[132:133], a[100:101], v[8:11]// 00000000E9FC: D3F30008 1C22C984
	buffer_load_dword v73, s[20:23], 0 offen lds               // 00000000EA04: E0511000 80050049
	s_add_u32 m0, 0xc00, s50                                   // 00000000EA0C: 807C32FF 00000C00
	v_mfma_f32_16x16x32_fp8_fp8 v[8:11], a[134:135], a[102:103], v[8:11]// 00000000EA14: D3F30008 1C22CD86
	v_fma_f32 v124, v12, v6, v124                              // 00000000EA1C: D1CB007C 05F20D0C
	v_fma_f32 v125, v13, v6, v125                              // 00000000EA24: D1CB007D 05F60D0D
	v_fma_f32 v126, v14, v6, v126                              // 00000000EA2C: D1CB007E 05FA0D0E
	v_fma_f32 v127, v15, v6, v127                              // 00000000EA34: D1CB007F 05FE0D0F
	v_mfma_f32_16x16x32_fp8_fp8 v[12:15], a[136:137], a[96:97], 0// 00000000EA3C: D3F3000C 1A02C188
	buffer_load_dword v74, s[20:23], 0 offen lds               // 00000000EA44: E0511000 8005004A
	s_add_u32 m0, 0xd00, s50                                   // 00000000EA4C: 807C32FF 00000D00
	v_mfma_f32_16x16x32_fp8_fp8 v[12:15], a[138:139], a[98:99], v[12:15]// 00000000EA54: D3F3000C 1C32C58A
	v_mfma_f32_16x16x32_fp8_fp8 v[12:15], a[140:141], a[100:101], v[12:15]// 00000000EA5C: D3F3000C 1C32C98C
	buffer_load_dword v75, s[20:23], 0 offen lds               // 00000000EA64: E0511000 8005004B
	s_add_u32 m0, 0xe00, s50                                   // 00000000EA6C: 807C32FF 00000E00
	v_mfma_f32_16x16x32_fp8_fp8 v[12:15], a[142:143], a[102:103], v[12:15]// 00000000EA74: D3F3000C 1C32CD8E
	v_fma_f32 v96, v8, v4, v96                                 // 00000000EA7C: D1CB0060 05820908
	v_fma_f32 v97, v9, v4, v97                                 // 00000000EA84: D1CB0061 05860909
	v_fma_f32 v98, v10, v4, v98                                // 00000000EA8C: D1CB0062 058A090A
	v_fma_f32 v99, v11, v4, v99                                // 00000000EA94: D1CB0063 058E090B
	v_mul_f32_dpp v6, v24, v43 row_newbcast:0 row_mask:0xf bank_mask:0xf// 00000000EA9C: 0A0C56FA FF015018
	v_mfma_f32_16x16x32_fp8_fp8 v[8:11], a[128:129], a[104:105], 0// 00000000EAA4: D3F30008 1A02D180
	buffer_load_dword v76, s[20:23], 0 offen lds               // 00000000EAAC: E0511000 8005004C
	s_add_u32 m0, 0xf00, s50                                   // 00000000EAB4: 807C32FF 00000F00
	v_mfma_f32_16x16x32_fp8_fp8 v[8:11], a[130:131], a[106:107], v[8:11]// 00000000EABC: D3F30008 1C22D582
	v_mfma_f32_16x16x32_fp8_fp8 v[8:11], a[132:133], a[108:109], v[8:11]// 00000000EAC4: D3F30008 1C22D984
	buffer_load_dword v77, s[20:23], 0 offen lds               // 00000000EACC: E0511000 8005004D
	s_add_u32 m0, 0, s48                                       // 00000000EAD4: 807C3080
	v_mfma_f32_16x16x32_fp8_fp8 v[8:11], a[134:135], a[110:111], v[8:11]// 00000000EAD8: D3F30008 1C22DD86
	v_fma_f32 v128, v12, v4, v128                              // 00000000EAE0: D1CB0080 0602090C
	v_fma_f32 v129, v13, v4, v129                              // 00000000EAE8: D1CB0081 0606090D
	v_fma_f32 v130, v14, v4, v130                              // 00000000EAF0: D1CB0082 060A090E
	v_fma_f32 v131, v15, v4, v131                              // 00000000EAF8: D1CB0083 060E090F
	v_mfma_f32_16x16x32_fp8_fp8 v[12:15], a[136:137], a[104:105], 0// 00000000EB00: D3F3000C 1A02D188
	buffer_load_dword v54, v30, s[28:31], 0 offen              // 00000000EB08: E0501000 8007361E
	v_mfma_f32_16x16x32_fp8_fp8 v[12:15], a[138:139], a[106:107], v[12:15]// 00000000EB10: D3F3000C 1C32D58A
	v_mfma_f32_16x16x32_fp8_fp8 v[12:15], a[140:141], a[108:109], v[12:15]// 00000000EB18: D3F3000C 1C32D98C
	buffer_load_dword v55, v31, s[28:31], 0 offen              // 00000000EB20: E0501000 8007371F
	v_mfma_f32_16x16x32_fp8_fp8 v[12:15], a[142:143], a[110:111], v[12:15]// 00000000EB28: D3F3000C 1C32DD8E
	v_fma_f32 v100, v8, v6, v100                               // 00000000EB30: D1CB0064 05920D08
	v_fma_f32 v101, v9, v6, v101                               // 00000000EB38: D1CB0065 05960D09
	v_fma_f32 v102, v10, v6, v102                              // 00000000EB40: D1CB0066 059A0D0A
	v_fma_f32 v103, v11, v6, v103                              // 00000000EB48: D1CB0067 059E0D0B
	v_mul_f32_dpp v4, v24, v44 row_newbcast:0 row_mask:0xf bank_mask:0xf// 00000000EB50: 0A0858FA FF015018
	v_mfma_f32_16x16x32_fp8_fp8 v[8:11], a[128:129], a[112:113], 0// 00000000EB58: D3F30008 1A02E180
	buffer_load_dword v56, v32, s[28:31], 0 offen              // 00000000EB60: E0501000 80073820
	v_mfma_f32_16x16x32_fp8_fp8 v[8:11], a[130:131], a[114:115], v[8:11]// 00000000EB68: D3F30008 1C22E582
	v_mfma_f32_16x16x32_fp8_fp8 v[8:11], a[132:133], a[116:117], v[8:11]// 00000000EB70: D3F30008 1C22E984
	buffer_load_dword v57, v33, s[28:31], 0 offen              // 00000000EB78: E0501000 80073921
	v_mfma_f32_16x16x32_fp8_fp8 v[8:11], a[134:135], a[118:119], v[8:11]// 00000000EB80: D3F30008 1C22ED86
	v_fma_f32 v132, v12, v6, v132                              // 00000000EB88: D1CB0084 06120D0C
	v_fma_f32 v133, v13, v6, v133                              // 00000000EB90: D1CB0085 06160D0D
	v_fma_f32 v134, v14, v6, v134                              // 00000000EB98: D1CB0086 061A0D0E
	v_fma_f32 v135, v15, v6, v135                              // 00000000EBA0: D1CB0087 061E0D0F
	v_mfma_f32_16x16x32_fp8_fp8 v[12:15], a[136:137], a[112:113], 0// 00000000EBA8: D3F3000C 1A02E188
	buffer_load_dword v58, v34, s[28:31], 0 offen              // 00000000EBB0: E0501000 80073A22
	v_mfma_f32_16x16x32_fp8_fp8 v[12:15], a[138:139], a[114:115], v[12:15]// 00000000EBB8: D3F3000C 1C32E58A
	v_mfma_f32_16x16x32_fp8_fp8 v[12:15], a[140:141], a[116:117], v[12:15]// 00000000EBC0: D3F3000C 1C32E98C
	buffer_load_dword v59, v35, s[28:31], 0 offen              // 00000000EBC8: E0501000 80073B23
	v_mfma_f32_16x16x32_fp8_fp8 v[12:15], a[142:143], a[118:119], v[12:15]// 00000000EBD0: D3F3000C 1C32ED8E
	v_fma_f32 v104, v8, v4, v104                               // 00000000EBD8: D1CB0068 05A20908
	v_fma_f32 v105, v9, v4, v105                               // 00000000EBE0: D1CB0069 05A60909
	v_fma_f32 v106, v10, v4, v106                              // 00000000EBE8: D1CB006A 05AA090A
	v_fma_f32 v107, v11, v4, v107                              // 00000000EBF0: D1CB006B 05AE090B
	v_mul_f32_dpp v6, v24, v45 row_newbcast:0 row_mask:0xf bank_mask:0xf// 00000000EBF8: 0A0C5AFA FF015018
	v_mfma_f32_16x16x32_fp8_fp8 v[8:11], a[128:129], a[120:121], 0// 00000000EC00: D3F30008 1A02F180
	buffer_load_dword v60, v36, s[28:31], 0 offen              // 00000000EC08: E0501000 80073C24
	v_mfma_f32_16x16x32_fp8_fp8 v[8:11], a[130:131], a[122:123], v[8:11]// 00000000EC10: D3F30008 1C22F582
	v_mfma_f32_16x16x32_fp8_fp8 v[8:11], a[132:133], a[124:125], v[8:11]// 00000000EC18: D3F30008 1C22F984
	buffer_load_dword v61, v37, s[28:31], 0 offen              // 00000000EC20: E0501000 80073D25
	v_mfma_f32_16x16x32_fp8_fp8 v[8:11], a[134:135], a[126:127], v[8:11]// 00000000EC28: D3F30008 1C22FD86
	v_fma_f32 v136, v12, v4, v136                              // 00000000EC30: D1CB0088 0622090C
	v_fma_f32 v137, v13, v4, v137                              // 00000000EC38: D1CB0089 0626090D
	v_fma_f32 v138, v14, v4, v138                              // 00000000EC40: D1CB008A 062A090E
	v_fma_f32 v139, v15, v4, v139                              // 00000000EC48: D1CB008B 062E090F
	v_mfma_f32_16x16x32_fp8_fp8 v[12:15], a[136:137], a[120:121], 0// 00000000EC50: D3F3000C 1A02F188
	v_mfma_f32_16x16x32_fp8_fp8 v[12:15], a[138:139], a[122:123], v[12:15]// 00000000EC58: D3F3000C 1C32F58A
	v_mfma_f32_16x16x32_fp8_fp8 v[12:15], a[140:141], a[124:125], v[12:15]// 00000000EC60: D3F3000C 1C32F98C
	v_mfma_f32_16x16x32_fp8_fp8 v[12:15], a[142:143], a[126:127], v[12:15]// 00000000EC68: D3F3000C 1C32FD8E
	v_fma_f32 v108, v8, v6, v108                               // 00000000EC70: D1CB006C 05B20D08
	v_fma_f32 v109, v9, v6, v109                               // 00000000EC78: D1CB006D 05B60D09
	v_fma_f32 v110, v10, v6, v110                              // 00000000EC80: D1CB006E 05BA0D0A
	v_fma_f32 v111, v11, v6, v111                              // 00000000EC88: D1CB006F 05BE0D0B
	v_fma_f32 v140, v12, v6, v140                              // 00000000EC90: D1CB008C 06320D0C
	v_fma_f32 v141, v13, v6, v141                              // 00000000EC98: D1CB008D 06360D0D
	v_fma_f32 v142, v14, v6, v142                              // 00000000ECA0: D1CB008E 063A0D0E
	v_fma_f32 v143, v15, v6, v143                              // 00000000ECA8: D1CB008F 063E0D0F
	s_waitcnt vmcnt(29)                                        // 00000000ECB0: BF8C4F7D
	s_barrier                                                  // 00000000ECB4: BF8A0000
	v_mul_f32_dpp v4, v27, v38 row_newbcast:0 row_mask:0xf bank_mask:0xf// 00000000ECB8: 0A084CFA FF01501B
	v_mfma_f32_16x16x32_fp8_fp8 v[8:11], a[144:145], a[64:65], 0// 00000000ECC0: D3F30008 1A028190
	buffer_load_dword v28, v23, s[32:35], 0 offen              // 00000000ECC8: E0501000 80081C17
	buffer_load_dwordx4 a[128:131], v78, s[84:87], 0 offen     // 00000000ECD0: E05C1000 8095804E
	v_mfma_f32_16x16x32_fp8_fp8 v[8:11], a[146:147], a[66:67], v[8:11]// 00000000ECD8: D3F30008 1C228592
	v_mfma_f32_16x16x32_fp8_fp8 v[8:11], a[148:149], a[68:69], v[8:11]// 00000000ECE0: D3F30008 1C228994
	ds_read_b128 a[0:3], v2 offset:16512                       // 00000000ECE8: DBFE4080 00000002
	ds_read_b128 a[4:7], v2 offset:16576                       // 00000000ECF0: DBFE40C0 04000002
	v_mfma_f32_16x16x32_fp8_fp8 v[8:11], a[150:151], a[70:71], v[8:11]// 00000000ECF8: D3F30008 1C228D96
	v_mfma_f32_16x16x32_fp8_fp8 v[12:15], a[152:153], a[64:65], 0// 00000000ED00: D3F3000C 1A028198
	buffer_load_dwordx4 a[132:135], v78, s[84:87], 0 offen offset:1024// 00000000ED08: E05C1400 8095844E
	v_mfma_f32_16x16x32_fp8_fp8 v[12:15], a[154:155], a[66:67], v[12:15]// 00000000ED10: D3F3000C 1C32859A
	v_mfma_f32_16x16x32_fp8_fp8 v[12:15], a[156:157], a[68:69], v[12:15]// 00000000ED18: D3F3000C 1C32899C
	ds_read_b128 a[8:11], v2 offset:17024                      // 00000000ED20: DBFE4280 08000002
	ds_read_b128 a[12:15], v2 offset:17088                     // 00000000ED28: DBFE42C0 0C000002
	v_mfma_f32_16x16x32_fp8_fp8 v[12:15], a[158:159], a[70:71], v[12:15]// 00000000ED30: D3F3000C 1C328D9E
	v_fma_f32 v144, v8, v4, v144                               // 00000000ED38: D1CB0090 06420908
	v_fma_f32 v145, v9, v4, v145                               // 00000000ED40: D1CB0091 06460909
	v_fma_f32 v146, v10, v4, v146                              // 00000000ED48: D1CB0092 064A090A
	v_fma_f32 v147, v11, v4, v147                              // 00000000ED50: D1CB0093 064E090B
	v_mul_f32_dpp v6, v27, v39 row_newbcast:0 row_mask:0xf bank_mask:0xf// 00000000ED58: 0A0C4EFA FF01501B
	v_mfma_f32_16x16x32_fp8_fp8 v[8:11], a[144:145], a[72:73], 0// 00000000ED60: D3F30008 1A029190
	buffer_load_dwordx4 a[136:139], v79, s[84:87], 0 offen     // 00000000ED68: E05C1000 8095884F
	v_mfma_f32_16x16x32_fp8_fp8 v[8:11], a[146:147], a[74:75], v[8:11]// 00000000ED70: D3F30008 1C229592
	v_mfma_f32_16x16x32_fp8_fp8 v[8:11], a[148:149], a[76:77], v[8:11]// 00000000ED78: D3F30008 1C229994
	ds_read_b128 a[16:19], v2 offset:17536                     // 00000000ED80: DBFE4480 10000002
	ds_read_b128 a[20:23], v2 offset:17600                     // 00000000ED88: DBFE44C0 14000002
	v_mfma_f32_16x16x32_fp8_fp8 v[8:11], a[150:151], a[78:79], v[8:11]// 00000000ED90: D3F30008 1C229D96
	v_fma_f32 v176, v12, v4, v176                              // 00000000ED98: D1CB00B0 06C2090C
	v_fma_f32 v177, v13, v4, v177                              // 00000000EDA0: D1CB00B1 06C6090D
	v_fma_f32 v178, v14, v4, v178                              // 00000000EDA8: D1CB00B2 06CA090E
	v_fma_f32 v179, v15, v4, v179                              // 00000000EDB0: D1CB00B3 06CE090F
	v_mfma_f32_16x16x32_fp8_fp8 v[12:15], a[152:153], a[72:73], 0// 00000000EDB8: D3F3000C 1A029198
	buffer_load_dwordx4 a[140:143], v79, s[84:87], 0 offen offset:1024// 00000000EDC0: E05C1400 80958C4F
	v_mfma_f32_16x16x32_fp8_fp8 v[12:15], a[154:155], a[74:75], v[12:15]// 00000000EDC8: D3F3000C 1C32959A
	v_mfma_f32_16x16x32_fp8_fp8 v[12:15], a[156:157], a[76:77], v[12:15]// 00000000EDD0: D3F3000C 1C32999C
	ds_read_b128 a[24:27], v2 offset:18048                     // 00000000EDD8: DBFE4680 18000002
	ds_read_b128 a[28:31], v2 offset:18112                     // 00000000EDE0: DBFE46C0 1C000002
	v_mfma_f32_16x16x32_fp8_fp8 v[12:15], a[158:159], a[78:79], v[12:15]// 00000000EDE8: D3F3000C 1C329D9E
	v_fma_f32 v148, v8, v6, v148                               // 00000000EDF0: D1CB0094 06520D08
	v_fma_f32 v149, v9, v6, v149                               // 00000000EDF8: D1CB0095 06560D09
	v_fma_f32 v150, v10, v6, v150                              // 00000000EE00: D1CB0096 065A0D0A
	v_fma_f32 v151, v11, v6, v151                              // 00000000EE08: D1CB0097 065E0D0B
	v_mul_f32_dpp v4, v27, v40 row_newbcast:0 row_mask:0xf bank_mask:0xf// 00000000EE10: 0A0850FA FF01501B
	v_mfma_f32_16x16x32_fp8_fp8 v[8:11], a[144:145], a[80:81], 0// 00000000EE18: D3F30008 1A02A190
	v_mfma_f32_16x16x32_fp8_fp8 v[8:11], a[146:147], a[82:83], v[8:11]// 00000000EE20: D3F30008 1C22A592
	v_mfma_f32_16x16x32_fp8_fp8 v[8:11], a[148:149], a[84:85], v[8:11]// 00000000EE28: D3F30008 1C22A994
	ds_read_b128 a[32:35], v2 offset:18560                     // 00000000EE30: DBFE4880 20000002
	ds_read_b128 a[36:39], v2 offset:18624                     // 00000000EE38: DBFE48C0 24000002
	v_mfma_f32_16x16x32_fp8_fp8 v[8:11], a[150:151], a[86:87], v[8:11]// 00000000EE40: D3F30008 1C22AD96
	v_fma_f32 v180, v12, v6, v180                              // 00000000EE48: D1CB00B4 06D20D0C
	v_fma_f32 v181, v13, v6, v181                              // 00000000EE50: D1CB00B5 06D60D0D
	v_fma_f32 v182, v14, v6, v182                              // 00000000EE58: D1CB00B6 06DA0D0E
	v_fma_f32 v183, v15, v6, v183                              // 00000000EE60: D1CB00B7 06DE0D0F
	v_mfma_f32_16x16x32_fp8_fp8 v[12:15], a[152:153], a[80:81], 0// 00000000EE68: D3F3000C 1A02A198
	v_mfma_f32_16x16x32_fp8_fp8 v[12:15], a[154:155], a[82:83], v[12:15]// 00000000EE70: D3F3000C 1C32A59A
	v_mfma_f32_16x16x32_fp8_fp8 v[12:15], a[156:157], a[84:85], v[12:15]// 00000000EE78: D3F3000C 1C32A99C
	ds_read_b128 a[40:43], v2 offset:19072                     // 00000000EE80: DBFE4A80 28000002
	ds_read_b128 a[44:47], v2 offset:19136                     // 00000000EE88: DBFE4AC0 2C000002
	v_mfma_f32_16x16x32_fp8_fp8 v[12:15], a[158:159], a[86:87], v[12:15]// 00000000EE90: D3F3000C 1C32AD9E
	v_fma_f32 v152, v8, v4, v152                               // 00000000EE98: D1CB0098 06620908
	v_fma_f32 v153, v9, v4, v153                               // 00000000EEA0: D1CB0099 06660909
	v_fma_f32 v154, v10, v4, v154                              // 00000000EEA8: D1CB009A 066A090A
	v_fma_f32 v155, v11, v4, v155                              // 00000000EEB0: D1CB009B 066E090B
	v_mul_f32_dpp v6, v27, v41 row_newbcast:0 row_mask:0xf bank_mask:0xf// 00000000EEB8: 0A0C52FA FF01501B
	v_mfma_f32_16x16x32_fp8_fp8 v[8:11], a[144:145], a[88:89], 0// 00000000EEC0: D3F30008 1A02B190
	v_mfma_f32_16x16x32_fp8_fp8 v[8:11], a[146:147], a[90:91], v[8:11]// 00000000EEC8: D3F30008 1C22B592
	v_mfma_f32_16x16x32_fp8_fp8 v[8:11], a[148:149], a[92:93], v[8:11]// 00000000EED0: D3F30008 1C22B994
	ds_read_b128 a[48:51], v2 offset:19584                     // 00000000EED8: DBFE4C80 30000002
	ds_read_b128 a[52:55], v2 offset:19648                     // 00000000EEE0: DBFE4CC0 34000002
	v_mfma_f32_16x16x32_fp8_fp8 v[8:11], a[150:151], a[94:95], v[8:11]// 00000000EEE8: D3F30008 1C22BD96
	v_fma_f32 v184, v12, v4, v184                              // 00000000EEF0: D1CB00B8 06E2090C
	v_fma_f32 v185, v13, v4, v185                              // 00000000EEF8: D1CB00B9 06E6090D
	v_fma_f32 v186, v14, v4, v186                              // 00000000EF00: D1CB00BA 06EA090E
	v_fma_f32 v187, v15, v4, v187                              // 00000000EF08: D1CB00BB 06EE090F
	v_mfma_f32_16x16x32_fp8_fp8 v[12:15], a[152:153], a[88:89], 0// 00000000EF10: D3F3000C 1A02B198
	v_mfma_f32_16x16x32_fp8_fp8 v[12:15], a[154:155], a[90:91], v[12:15]// 00000000EF18: D3F3000C 1C32B59A
	v_mfma_f32_16x16x32_fp8_fp8 v[12:15], a[156:157], a[92:93], v[12:15]// 00000000EF20: D3F3000C 1C32B99C
	ds_read_b128 a[56:59], v2 offset:20096                     // 00000000EF28: DBFE4E80 38000002
	ds_read_b128 a[60:63], v2 offset:20160                     // 00000000EF30: DBFE4EC0 3C000002
	v_mfma_f32_16x16x32_fp8_fp8 v[12:15], a[158:159], a[94:95], v[12:15]// 00000000EF38: D3F3000C 1C32BD9E
	v_fma_f32 v156, v8, v6, v156                               // 00000000EF40: D1CB009C 06720D08
	v_fma_f32 v157, v9, v6, v157                               // 00000000EF48: D1CB009D 06760D09
	v_fma_f32 v158, v10, v6, v158                              // 00000000EF50: D1CB009E 067A0D0A
	v_fma_f32 v159, v11, v6, v159                              // 00000000EF58: D1CB009F 067E0D0B
	v_mul_f32_dpp v4, v27, v42 row_newbcast:0 row_mask:0xf bank_mask:0xf// 00000000EF60: 0A0854FA FF01501B
	v_mfma_f32_16x16x32_fp8_fp8 v[8:11], a[144:145], a[96:97], 0// 00000000EF68: D3F30008 1A02C190
	v_mfma_f32_16x16x32_fp8_fp8 v[8:11], a[146:147], a[98:99], v[8:11]// 00000000EF70: D3F30008 1C22C592
	v_mfma_f32_16x16x32_fp8_fp8 v[8:11], a[148:149], a[100:101], v[8:11]// 00000000EF78: D3F30008 1C22C994
	v_mfma_f32_16x16x32_fp8_fp8 v[8:11], a[150:151], a[102:103], v[8:11]// 00000000EF80: D3F30008 1C22CD96
	v_fma_f32 v188, v12, v6, v188                              // 00000000EF88: D1CB00BC 06F20D0C
	v_fma_f32 v189, v13, v6, v189                              // 00000000EF90: D1CB00BD 06F60D0D
	v_fma_f32 v190, v14, v6, v190                              // 00000000EF98: D1CB00BE 06FA0D0E
	v_fma_f32 v191, v15, v6, v191                              // 00000000EFA0: D1CB00BF 06FE0D0F
	v_mfma_f32_16x16x32_fp8_fp8 v[12:15], a[152:153], a[96:97], 0// 00000000EFA8: D3F3000C 1A02C198
	v_mfma_f32_16x16x32_fp8_fp8 v[12:15], a[154:155], a[98:99], v[12:15]// 00000000EFB0: D3F3000C 1C32C59A
	v_mfma_f32_16x16x32_fp8_fp8 v[12:15], a[156:157], a[100:101], v[12:15]// 00000000EFB8: D3F3000C 1C32C99C
	v_mfma_f32_16x16x32_fp8_fp8 v[12:15], a[158:159], a[102:103], v[12:15]// 00000000EFC0: D3F3000C 1C32CD9E
	v_fma_f32 v160, v8, v4, v160                               // 00000000EFC8: D1CB00A0 06820908
	v_fma_f32 v161, v9, v4, v161                               // 00000000EFD0: D1CB00A1 06860909
	v_fma_f32 v162, v10, v4, v162                              // 00000000EFD8: D1CB00A2 068A090A
	v_fma_f32 v163, v11, v4, v163                              // 00000000EFE0: D1CB00A3 068E090B
	v_mul_f32_dpp v6, v27, v43 row_newbcast:0 row_mask:0xf bank_mask:0xf// 00000000EFE8: 0A0C56FA FF01501B
	v_mfma_f32_16x16x32_fp8_fp8 v[8:11], a[144:145], a[104:105], 0// 00000000EFF0: D3F30008 1A02D190
	v_mfma_f32_16x16x32_fp8_fp8 v[8:11], a[146:147], a[106:107], v[8:11]// 00000000EFF8: D3F30008 1C22D592
	v_mfma_f32_16x16x32_fp8_fp8 v[8:11], a[148:149], a[108:109], v[8:11]// 00000000F000: D3F30008 1C22D994
	v_mfma_f32_16x16x32_fp8_fp8 v[8:11], a[150:151], a[110:111], v[8:11]// 00000000F008: D3F30008 1C22DD96
	v_fma_f32 v192, v12, v4, v192                              // 00000000F010: D1CB00C0 0702090C
	v_fma_f32 v193, v13, v4, v193                              // 00000000F018: D1CB00C1 0706090D
	v_fma_f32 v194, v14, v4, v194                              // 00000000F020: D1CB00C2 070A090E
	v_fma_f32 v195, v15, v4, v195                              // 00000000F028: D1CB00C3 070E090F
	v_mfma_f32_16x16x32_fp8_fp8 v[12:15], a[152:153], a[104:105], 0// 00000000F030: D3F3000C 1A02D198
	v_mfma_f32_16x16x32_fp8_fp8 v[12:15], a[154:155], a[106:107], v[12:15]// 00000000F038: D3F3000C 1C32D59A
	v_mfma_f32_16x16x32_fp8_fp8 v[12:15], a[156:157], a[108:109], v[12:15]// 00000000F040: D3F3000C 1C32D99C
	v_mfma_f32_16x16x32_fp8_fp8 v[12:15], a[158:159], a[110:111], v[12:15]// 00000000F048: D3F3000C 1C32DD9E
	v_fma_f32 v164, v8, v6, v164                               // 00000000F050: D1CB00A4 06920D08
	v_fma_f32 v165, v9, v6, v165                               // 00000000F058: D1CB00A5 06960D09
	v_fma_f32 v166, v10, v6, v166                              // 00000000F060: D1CB00A6 069A0D0A
	v_fma_f32 v167, v11, v6, v167                              // 00000000F068: D1CB00A7 069E0D0B
	v_mul_f32_dpp v4, v27, v44 row_newbcast:0 row_mask:0xf bank_mask:0xf// 00000000F070: 0A0858FA FF01501B
	v_mfma_f32_16x16x32_fp8_fp8 v[8:11], a[144:145], a[112:113], 0// 00000000F078: D3F30008 1A02E190
	v_mfma_f32_16x16x32_fp8_fp8 v[8:11], a[146:147], a[114:115], v[8:11]// 00000000F080: D3F30008 1C22E592
	v_mfma_f32_16x16x32_fp8_fp8 v[8:11], a[148:149], a[116:117], v[8:11]// 00000000F088: D3F30008 1C22E994
	v_mfma_f32_16x16x32_fp8_fp8 v[8:11], a[150:151], a[118:119], v[8:11]// 00000000F090: D3F30008 1C22ED96
	v_fma_f32 v196, v12, v6, v196                              // 00000000F098: D1CB00C4 07120D0C
	v_fma_f32 v197, v13, v6, v197                              // 00000000F0A0: D1CB00C5 07160D0D
	v_fma_f32 v198, v14, v6, v198                              // 00000000F0A8: D1CB00C6 071A0D0E
	v_fma_f32 v199, v15, v6, v199                              // 00000000F0B0: D1CB00C7 071E0D0F
	v_mfma_f32_16x16x32_fp8_fp8 v[12:15], a[152:153], a[112:113], 0// 00000000F0B8: D3F3000C 1A02E198
	v_mfma_f32_16x16x32_fp8_fp8 v[12:15], a[154:155], a[114:115], v[12:15]// 00000000F0C0: D3F3000C 1C32E59A
	v_mfma_f32_16x16x32_fp8_fp8 v[12:15], a[156:157], a[116:117], v[12:15]// 00000000F0C8: D3F3000C 1C32E99C
	v_mfma_f32_16x16x32_fp8_fp8 v[12:15], a[158:159], a[118:119], v[12:15]// 00000000F0D0: D3F3000C 1C32ED9E
	v_fma_f32 v168, v8, v4, v168                               // 00000000F0D8: D1CB00A8 06A20908
	v_fma_f32 v169, v9, v4, v169                               // 00000000F0E0: D1CB00A9 06A60909
	v_fma_f32 v170, v10, v4, v170                              // 00000000F0E8: D1CB00AA 06AA090A
	v_fma_f32 v171, v11, v4, v171                              // 00000000F0F0: D1CB00AB 06AE090B
	v_mul_f32_dpp v6, v27, v45 row_newbcast:0 row_mask:0xf bank_mask:0xf// 00000000F0F8: 0A0C5AFA FF01501B
	v_mfma_f32_16x16x32_fp8_fp8 v[8:11], a[144:145], a[120:121], 0// 00000000F100: D3F30008 1A02F190
	s_add_u32 s60, 0x180, s80                                  // 00000000F108: 803C50FF 00000180
	s_cmp_lt_u32 s60, s81                                      // 00000000F110: BF0A513C
	s_cselect_b32 s57, s57, 0                                  // 00000000F114: 85398039
	s_cselect_b32 s3, s3, 0                                    // 00000000F118: 85038003
	v_mfma_f32_16x16x32_fp8_fp8 v[8:11], a[146:147], a[122:123], v[8:11]// 00000000F11C: D3F30008 1C22F592
	s_add_u32 s60, 0x100, s80                                  // 00000000F124: 803C50FF 00000100
	s_cmp_lt_u32 s60, s81                                      // 00000000F12C: BF0A513C
	s_cselect_b32 s58, s58, 0                                  // 00000000F130: 853A803A
	v_mfma_f32_16x16x32_fp8_fp8 v[8:11], a[148:149], a[124:125], v[8:11]// 00000000F134: D3F30008 1C22F994
	s_add_u32 s60, 0x100, s80                                  // 00000000F13C: 803C50FF 00000100
	s_cmp_lt_u32 s60, s81                                      // 00000000F144: BF0A513C
	s_cselect_b32 s83, s83, 0                                  // 00000000F148: 85538053
	s_cselect_b32 s4, s4, 0                                    // 00000000F14C: 85048004
	v_mfma_f32_16x16x32_fp8_fp8 v[8:11], a[150:151], a[126:127], v[8:11]// 00000000F150: D3F30008 1C22FD96
	s_add_u32 s24, s58, s24                                    // 00000000F158: 8018183A
	s_addc_u32 s25, 0, s25                                     // 00000000F15C: 82191980
	v_fma_f32 v200, v12, v4, v200                              // 00000000F160: D1CB00C8 0722090C
	v_fma_f32 v201, v13, v4, v201                              // 00000000F168: D1CB00C9 0726090D
	v_fma_f32 v202, v14, v4, v202                              // 00000000F170: D1CB00CA 072A090E
	v_fma_f32 v203, v15, v4, v203                              // 00000000F178: D1CB00CB 072E090F
	v_mfma_f32_16x16x32_fp8_fp8 v[12:15], a[152:153], a[120:121], 0// 00000000F180: D3F3000C 1A02F198
	s_add_u32 s20, s57, s20                                    // 00000000F188: 80141439
	s_addc_u32 s21, 0, s21                                     // 00000000F18C: 82151580
	s_add_u32 s28, s3, s28                                     // 00000000F190: 801C1C03
	s_addc_u32 s29, 0, s29                                     // 00000000F194: 821D1D80
	v_mfma_f32_16x16x32_fp8_fp8 v[12:15], a[154:155], a[122:123], v[12:15]// 00000000F198: D3F3000C 1C32F59A
	s_add_u32 s84, s83, s84                                    // 00000000F1A0: 80545453
	s_addc_u32 s85, 0, s85                                     // 00000000F1A4: 82555580
	v_mfma_f32_16x16x32_fp8_fp8 v[12:15], a[156:157], a[124:125], v[12:15]// 00000000F1A8: D3F3000C 1C32F99C
	s_add_u32 s32, s4, s32                                     // 00000000F1B0: 80202004
	s_addc_u32 s33, 0, s33                                     // 00000000F1B4: 82212180
	v_mfma_f32_16x16x32_fp8_fp8 v[12:15], a[158:159], a[126:127], v[12:15]// 00000000F1B8: D3F3000C 1C32FD9E
	v_fma_f32 v172, v8, v6, v172                               // 00000000F1C0: D1CB00AC 06B20D08
	v_fma_f32 v173, v9, v6, v173                               // 00000000F1C8: D1CB00AD 06B60D09
	v_fma_f32 v174, v10, v6, v174                              // 00000000F1D0: D1CB00AE 06BA0D0A
	v_fma_f32 v175, v11, v6, v175                              // 00000000F1D8: D1CB00AF 06BE0D0B
	v_fma_f32 v204, v12, v6, v204                              // 00000000F1E0: D1CB00CC 07320D0C
	v_fma_f32 v205, v13, v6, v205                              // 00000000F1E8: D1CB00CD 07360D0D
	v_fma_f32 v206, v14, v6, v206                              // 00000000F1F0: D1CB00CE 073A0D0E
	v_fma_f32 v207, v15, v6, v207                              // 00000000F1F8: D1CB00CF 073E0D0F
	s_addk_i32 s80, 0x80                                       // 00000000F200: B7500080
	s_cmp_lt_i32 s80, s81                                      // 00000000F204: BF045150
	s_cbranch_scc0 label_3789                                  // 00000000F208: BF840583
	s_waitcnt vmcnt(29) lgkmcnt(0)                             // 00000000F20C: BF8C407D
	v_mul_f32_dpp v4, v25, v46 row_newbcast:0 row_mask:0xf bank_mask:0xf// 00000000F210: 0A085CFA FF015019
	v_mfma_f32_16x16x32_fp8_fp8 v[8:11], a[160:161], a[0:1], 0 // 00000000F218: D3F30008 1A0201A0
	buffer_load_dword v26, v22, s[32:35], 0 offen              // 00000000F220: E0501000 80081A16
	buffer_load_dwordx4 a[144:147], v78, s[24:27], 0 offen     // 00000000F228: E05C1000 8086904E
	v_mfma_f32_16x16x32_fp8_fp8 v[8:11], a[162:163], a[2:3], v[8:11]// 00000000F230: D3F30008 1C2205A2
	v_mfma_f32_16x16x32_fp8_fp8 v[8:11], a[164:165], a[4:5], v[8:11]// 00000000F238: D3F30008 1C2209A4
	v_mfma_f32_16x16x32_fp8_fp8 v[8:11], a[166:167], a[6:7], v[8:11]// 00000000F240: D3F30008 1C220DA6
	v_mfma_f32_16x16x32_fp8_fp8 v[12:15], a[168:169], a[0:1], 0// 00000000F248: D3F3000C 1A0201A8
	buffer_load_dwordx4 a[148:151], v78, s[24:27], 0 offen offset:1024// 00000000F250: E05C1400 8086944E
	v_mfma_f32_16x16x32_fp8_fp8 v[12:15], a[170:171], a[2:3], v[12:15]// 00000000F258: D3F3000C 1C3205AA
	v_mfma_f32_16x16x32_fp8_fp8 v[12:15], a[172:173], a[4:5], v[12:15]// 00000000F260: D3F3000C 1C3209AC
	v_mfma_f32_16x16x32_fp8_fp8 v[12:15], a[174:175], a[6:7], v[12:15]// 00000000F268: D3F3000C 1C320DAE
	v_fma_f32 v80, v8, v4, v80                                 // 00000000F270: D1CB0050 05420908
	v_fma_f32 v81, v9, v4, v81                                 // 00000000F278: D1CB0051 05460909
	v_fma_f32 v82, v10, v4, v82                                // 00000000F280: D1CB0052 054A090A
	v_fma_f32 v83, v11, v4, v83                                // 00000000F288: D1CB0053 054E090B
	v_mul_f32_dpp v6, v25, v47 row_newbcast:0 row_mask:0xf bank_mask:0xf// 00000000F290: 0A0C5EFA FF015019
	v_mfma_f32_16x16x32_fp8_fp8 v[8:11], a[160:161], a[8:9], 0 // 00000000F298: D3F30008 1A0211A0
	buffer_load_dwordx4 a[152:155], v79, s[24:27], 0 offen     // 00000000F2A0: E05C1000 8086984F
	v_mfma_f32_16x16x32_fp8_fp8 v[8:11], a[162:163], a[10:11], v[8:11]// 00000000F2A8: D3F30008 1C2215A2
	v_mfma_f32_16x16x32_fp8_fp8 v[8:11], a[164:165], a[12:13], v[8:11]// 00000000F2B0: D3F30008 1C2219A4
	v_mfma_f32_16x16x32_fp8_fp8 v[8:11], a[166:167], a[14:15], v[8:11]// 00000000F2B8: D3F30008 1C221DA6
	v_fma_f32 v112, v12, v4, v112                              // 00000000F2C0: D1CB0070 05C2090C
	v_fma_f32 v113, v13, v4, v113                              // 00000000F2C8: D1CB0071 05C6090D
	v_fma_f32 v114, v14, v4, v114                              // 00000000F2D0: D1CB0072 05CA090E
	v_fma_f32 v115, v15, v4, v115                              // 00000000F2D8: D1CB0073 05CE090F
	v_mfma_f32_16x16x32_fp8_fp8 v[12:15], a[168:169], a[8:9], 0// 00000000F2E0: D3F3000C 1A0211A8
	buffer_load_dwordx4 a[156:159], v79, s[24:27], 0 offen offset:1024// 00000000F2E8: E05C1400 80869C4F
	buffer_load_dword v62, s[20:23], 0 offen lds               // 00000000F2F0: E0511000 8005003E
	s_add_u32 m0, 0x100, s48                                   // 00000000F2F8: 807C30FF 00000100
	v_mfma_f32_16x16x32_fp8_fp8 v[12:15], a[170:171], a[10:11], v[12:15]// 00000000F300: D3F3000C 1C3215AA
	v_mfma_f32_16x16x32_fp8_fp8 v[12:15], a[172:173], a[12:13], v[12:15]// 00000000F308: D3F3000C 1C3219AC
	buffer_load_dword v63, s[20:23], 0 offen lds               // 00000000F310: E0511000 8005003F
	s_add_u32 m0, 0x200, s48                                   // 00000000F318: 807C30FF 00000200
	v_mfma_f32_16x16x32_fp8_fp8 v[12:15], a[174:175], a[14:15], v[12:15]// 00000000F320: D3F3000C 1C321DAE
	v_fma_f32 v84, v8, v6, v84                                 // 00000000F328: D1CB0054 05520D08
	v_fma_f32 v85, v9, v6, v85                                 // 00000000F330: D1CB0055 05560D09
	v_fma_f32 v86, v10, v6, v86                                // 00000000F338: D1CB0056 055A0D0A
	v_fma_f32 v87, v11, v6, v87                                // 00000000F340: D1CB0057 055E0D0B
	v_mul_f32_dpp v4, v25, v48 row_newbcast:0 row_mask:0xf bank_mask:0xf// 00000000F348: 0A0860FA FF015019
	v_mfma_f32_16x16x32_fp8_fp8 v[8:11], a[160:161], a[16:17], 0// 00000000F350: D3F30008 1A0221A0
	buffer_load_dword v64, s[20:23], 0 offen lds               // 00000000F358: E0511000 80050040
	s_add_u32 m0, 0x300, s48                                   // 00000000F360: 807C30FF 00000300
	v_mfma_f32_16x16x32_fp8_fp8 v[8:11], a[162:163], a[18:19], v[8:11]// 00000000F368: D3F30008 1C2225A2
	v_mfma_f32_16x16x32_fp8_fp8 v[8:11], a[164:165], a[20:21], v[8:11]// 00000000F370: D3F30008 1C2229A4
	buffer_load_dword v65, s[20:23], 0 offen lds               // 00000000F378: E0511000 80050041
	s_add_u32 m0, 0x400, s48                                   // 00000000F380: 807C30FF 00000400
	v_mfma_f32_16x16x32_fp8_fp8 v[8:11], a[166:167], a[22:23], v[8:11]// 00000000F388: D3F30008 1C222DA6
	v_fma_f32 v116, v12, v6, v116                              // 00000000F390: D1CB0074 05D20D0C
	v_fma_f32 v117, v13, v6, v117                              // 00000000F398: D1CB0075 05D60D0D
	v_fma_f32 v118, v14, v6, v118                              // 00000000F3A0: D1CB0076 05DA0D0E
	v_fma_f32 v119, v15, v6, v119                              // 00000000F3A8: D1CB0077 05DE0D0F
	v_mfma_f32_16x16x32_fp8_fp8 v[12:15], a[168:169], a[16:17], 0// 00000000F3B0: D3F3000C 1A0221A8
	buffer_load_dword v66, s[20:23], 0 offen lds               // 00000000F3B8: E0511000 80050042
	s_add_u32 m0, 0x500, s48                                   // 00000000F3C0: 807C30FF 00000500
	v_mfma_f32_16x16x32_fp8_fp8 v[12:15], a[170:171], a[18:19], v[12:15]// 00000000F3C8: D3F3000C 1C3225AA
	v_mfma_f32_16x16x32_fp8_fp8 v[12:15], a[172:173], a[20:21], v[12:15]// 00000000F3D0: D3F3000C 1C3229AC
	buffer_load_dword v67, s[20:23], 0 offen lds               // 00000000F3D8: E0511000 80050043
	s_add_u32 m0, 0x600, s48                                   // 00000000F3E0: 807C30FF 00000600
	v_mfma_f32_16x16x32_fp8_fp8 v[12:15], a[174:175], a[22:23], v[12:15]// 00000000F3E8: D3F3000C 1C322DAE
	v_fma_f32 v88, v8, v4, v88                                 // 00000000F3F0: D1CB0058 05620908
	v_fma_f32 v89, v9, v4, v89                                 // 00000000F3F8: D1CB0059 05660909
	v_fma_f32 v90, v10, v4, v90                                // 00000000F400: D1CB005A 056A090A
	v_fma_f32 v91, v11, v4, v91                                // 00000000F408: D1CB005B 056E090B
	v_mul_f32_dpp v6, v25, v49 row_newbcast:0 row_mask:0xf bank_mask:0xf// 00000000F410: 0A0C62FA FF015019
	v_mfma_f32_16x16x32_fp8_fp8 v[8:11], a[160:161], a[24:25], 0// 00000000F418: D3F30008 1A0231A0
	buffer_load_dword v68, s[20:23], 0 offen lds               // 00000000F420: E0511000 80050044
	s_add_u32 m0, 0x700, s48                                   // 00000000F428: 807C30FF 00000700
	v_mfma_f32_16x16x32_fp8_fp8 v[8:11], a[162:163], a[26:27], v[8:11]// 00000000F430: D3F30008 1C2235A2
	v_mfma_f32_16x16x32_fp8_fp8 v[8:11], a[164:165], a[28:29], v[8:11]// 00000000F438: D3F30008 1C2239A4
	buffer_load_dword v69, s[20:23], 0 offen lds               // 00000000F440: E0511000 80050045
	s_add_u32 m0, 0x800, s48                                   // 00000000F448: 807C30FF 00000800
	v_mfma_f32_16x16x32_fp8_fp8 v[8:11], a[166:167], a[30:31], v[8:11]// 00000000F450: D3F30008 1C223DA6
	v_fma_f32 v120, v12, v4, v120                              // 00000000F458: D1CB0078 05E2090C
	v_fma_f32 v121, v13, v4, v121                              // 00000000F460: D1CB0079 05E6090D
	v_fma_f32 v122, v14, v4, v122                              // 00000000F468: D1CB007A 05EA090E
	v_fma_f32 v123, v15, v4, v123                              // 00000000F470: D1CB007B 05EE090F
	v_mfma_f32_16x16x32_fp8_fp8 v[12:15], a[168:169], a[24:25], 0// 00000000F478: D3F3000C 1A0231A8
	buffer_load_dword v70, s[20:23], 0 offen lds               // 00000000F480: E0511000 80050046
	s_add_u32 m0, 0x900, s48                                   // 00000000F488: 807C30FF 00000900
	v_mfma_f32_16x16x32_fp8_fp8 v[12:15], a[170:171], a[26:27], v[12:15]// 00000000F490: D3F3000C 1C3235AA
	v_mfma_f32_16x16x32_fp8_fp8 v[12:15], a[172:173], a[28:29], v[12:15]// 00000000F498: D3F3000C 1C3239AC
	buffer_load_dword v71, s[20:23], 0 offen lds               // 00000000F4A0: E0511000 80050047
	s_add_u32 m0, 0xa00, s48                                   // 00000000F4A8: 807C30FF 00000A00
	v_mfma_f32_16x16x32_fp8_fp8 v[12:15], a[174:175], a[30:31], v[12:15]// 00000000F4B0: D3F3000C 1C323DAE
	v_fma_f32 v92, v8, v6, v92                                 // 00000000F4B8: D1CB005C 05720D08
	v_fma_f32 v93, v9, v6, v93                                 // 00000000F4C0: D1CB005D 05760D09
	v_fma_f32 v94, v10, v6, v94                                // 00000000F4C8: D1CB005E 057A0D0A
	v_fma_f32 v95, v11, v6, v95                                // 00000000F4D0: D1CB005F 057E0D0B
	v_mul_f32_dpp v4, v25, v50 row_newbcast:0 row_mask:0xf bank_mask:0xf// 00000000F4D8: 0A0864FA FF015019
	v_mfma_f32_16x16x32_fp8_fp8 v[8:11], a[160:161], a[32:33], 0// 00000000F4E0: D3F30008 1A0241A0
	buffer_load_dword v72, s[20:23], 0 offen lds               // 00000000F4E8: E0511000 80050048
	s_add_u32 m0, 0xb00, s48                                   // 00000000F4F0: 807C30FF 00000B00
	v_mfma_f32_16x16x32_fp8_fp8 v[8:11], a[162:163], a[34:35], v[8:11]// 00000000F4F8: D3F30008 1C2245A2
	v_mfma_f32_16x16x32_fp8_fp8 v[8:11], a[164:165], a[36:37], v[8:11]// 00000000F500: D3F30008 1C2249A4
	buffer_load_dword v73, s[20:23], 0 offen lds               // 00000000F508: E0511000 80050049
	s_add_u32 m0, 0xc00, s48                                   // 00000000F510: 807C30FF 00000C00
	v_mfma_f32_16x16x32_fp8_fp8 v[8:11], a[166:167], a[38:39], v[8:11]// 00000000F518: D3F30008 1C224DA6
	v_fma_f32 v124, v12, v6, v124                              // 00000000F520: D1CB007C 05F20D0C
	v_fma_f32 v125, v13, v6, v125                              // 00000000F528: D1CB007D 05F60D0D
	v_fma_f32 v126, v14, v6, v126                              // 00000000F530: D1CB007E 05FA0D0E
	v_fma_f32 v127, v15, v6, v127                              // 00000000F538: D1CB007F 05FE0D0F
	v_mfma_f32_16x16x32_fp8_fp8 v[12:15], a[168:169], a[32:33], 0// 00000000F540: D3F3000C 1A0241A8
	buffer_load_dword v74, s[20:23], 0 offen lds               // 00000000F548: E0511000 8005004A
	s_add_u32 m0, 0xd00, s48                                   // 00000000F550: 807C30FF 00000D00
	v_mfma_f32_16x16x32_fp8_fp8 v[12:15], a[170:171], a[34:35], v[12:15]// 00000000F558: D3F3000C 1C3245AA
	v_mfma_f32_16x16x32_fp8_fp8 v[12:15], a[172:173], a[36:37], v[12:15]// 00000000F560: D3F3000C 1C3249AC
	buffer_load_dword v75, s[20:23], 0 offen lds               // 00000000F568: E0511000 8005004B
	s_add_u32 m0, 0xe00, s48                                   // 00000000F570: 807C30FF 00000E00
	v_mfma_f32_16x16x32_fp8_fp8 v[12:15], a[174:175], a[38:39], v[12:15]// 00000000F578: D3F3000C 1C324DAE
	v_fma_f32 v96, v8, v4, v96                                 // 00000000F580: D1CB0060 05820908
	v_fma_f32 v97, v9, v4, v97                                 // 00000000F588: D1CB0061 05860909
	v_fma_f32 v98, v10, v4, v98                                // 00000000F590: D1CB0062 058A090A
	v_fma_f32 v99, v11, v4, v99                                // 00000000F598: D1CB0063 058E090B
	v_mul_f32_dpp v6, v25, v51 row_newbcast:0 row_mask:0xf bank_mask:0xf// 00000000F5A0: 0A0C66FA FF015019
	v_mfma_f32_16x16x32_fp8_fp8 v[8:11], a[160:161], a[40:41], 0// 00000000F5A8: D3F30008 1A0251A0
	buffer_load_dword v76, s[20:23], 0 offen lds               // 00000000F5B0: E0511000 8005004C
	s_add_u32 m0, 0xf00, s48                                   // 00000000F5B8: 807C30FF 00000F00
	v_mfma_f32_16x16x32_fp8_fp8 v[8:11], a[162:163], a[42:43], v[8:11]// 00000000F5C0: D3F30008 1C2255A2
	v_mfma_f32_16x16x32_fp8_fp8 v[8:11], a[164:165], a[44:45], v[8:11]// 00000000F5C8: D3F30008 1C2259A4
	buffer_load_dword v77, s[20:23], 0 offen lds               // 00000000F5D0: E0511000 8005004D
	s_add_u32 m0, 0, s49                                       // 00000000F5D8: 807C3180
	v_mfma_f32_16x16x32_fp8_fp8 v[8:11], a[166:167], a[46:47], v[8:11]// 00000000F5DC: D3F30008 1C225DA6
	v_fma_f32 v128, v12, v4, v128                              // 00000000F5E4: D1CB0080 0602090C
	v_fma_f32 v129, v13, v4, v129                              // 00000000F5EC: D1CB0081 0606090D
	v_fma_f32 v130, v14, v4, v130                              // 00000000F5F4: D1CB0082 060A090E
	v_fma_f32 v131, v15, v4, v131                              // 00000000F5FC: D1CB0083 060E090F
	v_mfma_f32_16x16x32_fp8_fp8 v[12:15], a[168:169], a[40:41], 0// 00000000F604: D3F3000C 1A0251A8
	buffer_load_dword v38, v30, s[28:31], 0 offen              // 00000000F60C: E0501000 8007261E
	v_mfma_f32_16x16x32_fp8_fp8 v[12:15], a[170:171], a[42:43], v[12:15]// 00000000F614: D3F3000C 1C3255AA
	v_mfma_f32_16x16x32_fp8_fp8 v[12:15], a[172:173], a[44:45], v[12:15]// 00000000F61C: D3F3000C 1C3259AC
	buffer_load_dword v39, v31, s[28:31], 0 offen              // 00000000F624: E0501000 8007271F
	v_mfma_f32_16x16x32_fp8_fp8 v[12:15], a[174:175], a[46:47], v[12:15]// 00000000F62C: D3F3000C 1C325DAE
	v_fma_f32 v100, v8, v6, v100                               // 00000000F634: D1CB0064 05920D08
	v_fma_f32 v101, v9, v6, v101                               // 00000000F63C: D1CB0065 05960D09
	v_fma_f32 v102, v10, v6, v102                              // 00000000F644: D1CB0066 059A0D0A
	v_fma_f32 v103, v11, v6, v103                              // 00000000F64C: D1CB0067 059E0D0B
	v_mul_f32_dpp v4, v25, v52 row_newbcast:0 row_mask:0xf bank_mask:0xf// 00000000F654: 0A0868FA FF015019
	v_mfma_f32_16x16x32_fp8_fp8 v[8:11], a[160:161], a[48:49], 0// 00000000F65C: D3F30008 1A0261A0
	buffer_load_dword v40, v32, s[28:31], 0 offen              // 00000000F664: E0501000 80072820
	v_mfma_f32_16x16x32_fp8_fp8 v[8:11], a[162:163], a[50:51], v[8:11]// 00000000F66C: D3F30008 1C2265A2
	v_mfma_f32_16x16x32_fp8_fp8 v[8:11], a[164:165], a[52:53], v[8:11]// 00000000F674: D3F30008 1C2269A4
	buffer_load_dword v41, v33, s[28:31], 0 offen              // 00000000F67C: E0501000 80072921
	v_mfma_f32_16x16x32_fp8_fp8 v[8:11], a[166:167], a[54:55], v[8:11]// 00000000F684: D3F30008 1C226DA6
	v_fma_f32 v132, v12, v6, v132                              // 00000000F68C: D1CB0084 06120D0C
	v_fma_f32 v133, v13, v6, v133                              // 00000000F694: D1CB0085 06160D0D
	v_fma_f32 v134, v14, v6, v134                              // 00000000F69C: D1CB0086 061A0D0E
	v_fma_f32 v135, v15, v6, v135                              // 00000000F6A4: D1CB0087 061E0D0F
	v_mfma_f32_16x16x32_fp8_fp8 v[12:15], a[168:169], a[48:49], 0// 00000000F6AC: D3F3000C 1A0261A8
	buffer_load_dword v42, v34, s[28:31], 0 offen              // 00000000F6B4: E0501000 80072A22
	v_mfma_f32_16x16x32_fp8_fp8 v[12:15], a[170:171], a[50:51], v[12:15]// 00000000F6BC: D3F3000C 1C3265AA
	v_mfma_f32_16x16x32_fp8_fp8 v[12:15], a[172:173], a[52:53], v[12:15]// 00000000F6C4: D3F3000C 1C3269AC
	buffer_load_dword v43, v35, s[28:31], 0 offen              // 00000000F6CC: E0501000 80072B23
	v_mfma_f32_16x16x32_fp8_fp8 v[12:15], a[174:175], a[54:55], v[12:15]// 00000000F6D4: D3F3000C 1C326DAE
	v_fma_f32 v104, v8, v4, v104                               // 00000000F6DC: D1CB0068 05A20908
	v_fma_f32 v105, v9, v4, v105                               // 00000000F6E4: D1CB0069 05A60909
	v_fma_f32 v106, v10, v4, v106                              // 00000000F6EC: D1CB006A 05AA090A
	v_fma_f32 v107, v11, v4, v107                              // 00000000F6F4: D1CB006B 05AE090B
	v_mul_f32_dpp v6, v25, v53 row_newbcast:0 row_mask:0xf bank_mask:0xf// 00000000F6FC: 0A0C6AFA FF015019
	v_mfma_f32_16x16x32_fp8_fp8 v[8:11], a[160:161], a[56:57], 0// 00000000F704: D3F30008 1A0271A0
	buffer_load_dword v44, v36, s[28:31], 0 offen              // 00000000F70C: E0501000 80072C24
	v_mfma_f32_16x16x32_fp8_fp8 v[8:11], a[162:163], a[58:59], v[8:11]// 00000000F714: D3F30008 1C2275A2
	v_mfma_f32_16x16x32_fp8_fp8 v[8:11], a[164:165], a[60:61], v[8:11]// 00000000F71C: D3F30008 1C2279A4
	buffer_load_dword v45, v37, s[28:31], 0 offen              // 00000000F724: E0501000 80072D25
	v_mfma_f32_16x16x32_fp8_fp8 v[8:11], a[166:167], a[62:63], v[8:11]// 00000000F72C: D3F30008 1C227DA6
	v_fma_f32 v136, v12, v4, v136                              // 00000000F734: D1CB0088 0622090C
	v_fma_f32 v137, v13, v4, v137                              // 00000000F73C: D1CB0089 0626090D
	v_fma_f32 v138, v14, v4, v138                              // 00000000F744: D1CB008A 062A090E
	v_fma_f32 v139, v15, v4, v139                              // 00000000F74C: D1CB008B 062E090F
	v_mfma_f32_16x16x32_fp8_fp8 v[12:15], a[168:169], a[56:57], 0// 00000000F754: D3F3000C 1A0271A8
	v_mfma_f32_16x16x32_fp8_fp8 v[12:15], a[170:171], a[58:59], v[12:15]// 00000000F75C: D3F3000C 1C3275AA
	v_mfma_f32_16x16x32_fp8_fp8 v[12:15], a[172:173], a[60:61], v[12:15]// 00000000F764: D3F3000C 1C3279AC
	v_mfma_f32_16x16x32_fp8_fp8 v[12:15], a[174:175], a[62:63], v[12:15]// 00000000F76C: D3F3000C 1C327DAE
	v_fma_f32 v108, v8, v6, v108                               // 00000000F774: D1CB006C 05B20D08
	v_fma_f32 v109, v9, v6, v109                               // 00000000F77C: D1CB006D 05B60D09
	v_fma_f32 v110, v10, v6, v110                              // 00000000F784: D1CB006E 05BA0D0A
	v_fma_f32 v111, v11, v6, v111                              // 00000000F78C: D1CB006F 05BE0D0B
	v_fma_f32 v140, v12, v6, v140                              // 00000000F794: D1CB008C 06320D0C
	v_fma_f32 v141, v13, v6, v141                              // 00000000F79C: D1CB008D 06360D0D
	v_fma_f32 v142, v14, v6, v142                              // 00000000F7A4: D1CB008E 063A0D0E
	v_fma_f32 v143, v15, v6, v143                              // 00000000F7AC: D1CB008F 063E0D0F
	s_waitcnt vmcnt(29)                                        // 00000000F7B4: BF8C4F7D
	s_barrier                                                  // 00000000F7B8: BF8A0000
	v_mul_f32_dpp v4, v28, v46 row_newbcast:0 row_mask:0xf bank_mask:0xf// 00000000F7BC: 0A085CFA FF01501C
	v_mfma_f32_16x16x32_fp8_fp8 v[8:11], a[128:129], a[0:1], 0 // 00000000F7C4: D3F30008 1A020180
	buffer_load_dword v29, v23, s[32:35], 0 offen              // 00000000F7CC: E0501000 80081D17
	buffer_load_dwordx4 a[160:163], v78, s[84:87], 0 offen     // 00000000F7D4: E05C1000 8095A04E
	v_mfma_f32_16x16x32_fp8_fp8 v[8:11], a[130:131], a[2:3], v[8:11]// 00000000F7DC: D3F30008 1C220582
	v_mfma_f32_16x16x32_fp8_fp8 v[8:11], a[132:133], a[4:5], v[8:11]// 00000000F7E4: D3F30008 1C220984
	ds_read_b128 a[64:67], v2 offset:33024                     // 00000000F7EC: DBFE8100 40000002
	ds_read_b128 a[68:71], v2 offset:33088                     // 00000000F7F4: DBFE8140 44000002
	v_mfma_f32_16x16x32_fp8_fp8 v[8:11], a[134:135], a[6:7], v[8:11]// 00000000F7FC: D3F30008 1C220D86
	v_mfma_f32_16x16x32_fp8_fp8 v[12:15], a[136:137], a[0:1], 0// 00000000F804: D3F3000C 1A020188
	buffer_load_dwordx4 a[164:167], v78, s[84:87], 0 offen offset:1024// 00000000F80C: E05C1400 8095A44E
	v_mfma_f32_16x16x32_fp8_fp8 v[12:15], a[138:139], a[2:3], v[12:15]// 00000000F814: D3F3000C 1C32058A
	v_mfma_f32_16x16x32_fp8_fp8 v[12:15], a[140:141], a[4:5], v[12:15]// 00000000F81C: D3F3000C 1C32098C
	ds_read_b128 a[72:75], v2 offset:33536                     // 00000000F824: DBFE8300 48000002
	ds_read_b128 a[76:79], v2 offset:33600                     // 00000000F82C: DBFE8340 4C000002
	v_mfma_f32_16x16x32_fp8_fp8 v[12:15], a[142:143], a[6:7], v[12:15]// 00000000F834: D3F3000C 1C320D8E
	v_fma_f32 v144, v8, v4, v144                               // 00000000F83C: D1CB0090 06420908
	v_fma_f32 v145, v9, v4, v145                               // 00000000F844: D1CB0091 06460909
	v_fma_f32 v146, v10, v4, v146                              // 00000000F84C: D1CB0092 064A090A
	v_fma_f32 v147, v11, v4, v147                              // 00000000F854: D1CB0093 064E090B
	v_mul_f32_dpp v6, v28, v47 row_newbcast:0 row_mask:0xf bank_mask:0xf// 00000000F85C: 0A0C5EFA FF01501C
	v_mfma_f32_16x16x32_fp8_fp8 v[8:11], a[128:129], a[8:9], 0 // 00000000F864: D3F30008 1A021180
	buffer_load_dwordx4 a[168:171], v79, s[84:87], 0 offen     // 00000000F86C: E05C1000 8095A84F
	v_mfma_f32_16x16x32_fp8_fp8 v[8:11], a[130:131], a[10:11], v[8:11]// 00000000F874: D3F30008 1C221582
	v_mfma_f32_16x16x32_fp8_fp8 v[8:11], a[132:133], a[12:13], v[8:11]// 00000000F87C: D3F30008 1C221984
	ds_read_b128 a[80:83], v2 offset:34048                     // 00000000F884: DBFE8500 50000002
	ds_read_b128 a[84:87], v2 offset:34112                     // 00000000F88C: DBFE8540 54000002
	v_mfma_f32_16x16x32_fp8_fp8 v[8:11], a[134:135], a[14:15], v[8:11]// 00000000F894: D3F30008 1C221D86
	v_fma_f32 v176, v12, v4, v176                              // 00000000F89C: D1CB00B0 06C2090C
	v_fma_f32 v177, v13, v4, v177                              // 00000000F8A4: D1CB00B1 06C6090D
	v_fma_f32 v178, v14, v4, v178                              // 00000000F8AC: D1CB00B2 06CA090E
	v_fma_f32 v179, v15, v4, v179                              // 00000000F8B4: D1CB00B3 06CE090F
	v_mfma_f32_16x16x32_fp8_fp8 v[12:15], a[136:137], a[8:9], 0// 00000000F8BC: D3F3000C 1A021188
	buffer_load_dwordx4 a[172:175], v79, s[84:87], 0 offen offset:1024// 00000000F8C4: E05C1400 8095AC4F
	v_mfma_f32_16x16x32_fp8_fp8 v[12:15], a[138:139], a[10:11], v[12:15]// 00000000F8CC: D3F3000C 1C32158A
	v_mfma_f32_16x16x32_fp8_fp8 v[12:15], a[140:141], a[12:13], v[12:15]// 00000000F8D4: D3F3000C 1C32198C
	ds_read_b128 a[88:91], v2 offset:34560                     // 00000000F8DC: DBFE8700 58000002
	ds_read_b128 a[92:95], v2 offset:34624                     // 00000000F8E4: DBFE8740 5C000002
	v_mfma_f32_16x16x32_fp8_fp8 v[12:15], a[142:143], a[14:15], v[12:15]// 00000000F8EC: D3F3000C 1C321D8E
	v_fma_f32 v148, v8, v6, v148                               // 00000000F8F4: D1CB0094 06520D08
	v_fma_f32 v149, v9, v6, v149                               // 00000000F8FC: D1CB0095 06560D09
	v_fma_f32 v150, v10, v6, v150                              // 00000000F904: D1CB0096 065A0D0A
	v_fma_f32 v151, v11, v6, v151                              // 00000000F90C: D1CB0097 065E0D0B
	v_mul_f32_dpp v4, v28, v48 row_newbcast:0 row_mask:0xf bank_mask:0xf// 00000000F914: 0A0860FA FF01501C
	v_mfma_f32_16x16x32_fp8_fp8 v[8:11], a[128:129], a[16:17], 0// 00000000F91C: D3F30008 1A022180
	v_mfma_f32_16x16x32_fp8_fp8 v[8:11], a[130:131], a[18:19], v[8:11]// 00000000F924: D3F30008 1C222582
	v_mfma_f32_16x16x32_fp8_fp8 v[8:11], a[132:133], a[20:21], v[8:11]// 00000000F92C: D3F30008 1C222984
	ds_read_b128 a[96:99], v2 offset:35072                     // 00000000F934: DBFE8900 60000002
	ds_read_b128 a[100:103], v2 offset:35136                   // 00000000F93C: DBFE8940 64000002
	v_mfma_f32_16x16x32_fp8_fp8 v[8:11], a[134:135], a[22:23], v[8:11]// 00000000F944: D3F30008 1C222D86
	v_fma_f32 v180, v12, v6, v180                              // 00000000F94C: D1CB00B4 06D20D0C
	v_fma_f32 v181, v13, v6, v181                              // 00000000F954: D1CB00B5 06D60D0D
	v_fma_f32 v182, v14, v6, v182                              // 00000000F95C: D1CB00B6 06DA0D0E
	v_fma_f32 v183, v15, v6, v183                              // 00000000F964: D1CB00B7 06DE0D0F
	v_mfma_f32_16x16x32_fp8_fp8 v[12:15], a[136:137], a[16:17], 0// 00000000F96C: D3F3000C 1A022188
	v_mfma_f32_16x16x32_fp8_fp8 v[12:15], a[138:139], a[18:19], v[12:15]// 00000000F974: D3F3000C 1C32258A
	v_mfma_f32_16x16x32_fp8_fp8 v[12:15], a[140:141], a[20:21], v[12:15]// 00000000F97C: D3F3000C 1C32298C
	ds_read_b128 a[104:107], v2 offset:35584                   // 00000000F984: DBFE8B00 68000002
	ds_read_b128 a[108:111], v2 offset:35648                   // 00000000F98C: DBFE8B40 6C000002
	v_mfma_f32_16x16x32_fp8_fp8 v[12:15], a[142:143], a[22:23], v[12:15]// 00000000F994: D3F3000C 1C322D8E
	v_fma_f32 v152, v8, v4, v152                               // 00000000F99C: D1CB0098 06620908
	v_fma_f32 v153, v9, v4, v153                               // 00000000F9A4: D1CB0099 06660909
	v_fma_f32 v154, v10, v4, v154                              // 00000000F9AC: D1CB009A 066A090A
	v_fma_f32 v155, v11, v4, v155                              // 00000000F9B4: D1CB009B 066E090B
	v_mul_f32_dpp v6, v28, v49 row_newbcast:0 row_mask:0xf bank_mask:0xf// 00000000F9BC: 0A0C62FA FF01501C
	v_mfma_f32_16x16x32_fp8_fp8 v[8:11], a[128:129], a[24:25], 0// 00000000F9C4: D3F30008 1A023180
	v_mfma_f32_16x16x32_fp8_fp8 v[8:11], a[130:131], a[26:27], v[8:11]// 00000000F9CC: D3F30008 1C223582
	v_mfma_f32_16x16x32_fp8_fp8 v[8:11], a[132:133], a[28:29], v[8:11]// 00000000F9D4: D3F30008 1C223984
	ds_read_b128 a[112:115], v2 offset:36096                   // 00000000F9DC: DBFE8D00 70000002
	ds_read_b128 a[116:119], v2 offset:36160                   // 00000000F9E4: DBFE8D40 74000002
	v_mfma_f32_16x16x32_fp8_fp8 v[8:11], a[134:135], a[30:31], v[8:11]// 00000000F9EC: D3F30008 1C223D86
	v_fma_f32 v184, v12, v4, v184                              // 00000000F9F4: D1CB00B8 06E2090C
	v_fma_f32 v185, v13, v4, v185                              // 00000000F9FC: D1CB00B9 06E6090D
	v_fma_f32 v186, v14, v4, v186                              // 00000000FA04: D1CB00BA 06EA090E
	v_fma_f32 v187, v15, v4, v187                              // 00000000FA0C: D1CB00BB 06EE090F
	v_mfma_f32_16x16x32_fp8_fp8 v[12:15], a[136:137], a[24:25], 0// 00000000FA14: D3F3000C 1A023188
	v_mfma_f32_16x16x32_fp8_fp8 v[12:15], a[138:139], a[26:27], v[12:15]// 00000000FA1C: D3F3000C 1C32358A
	v_mfma_f32_16x16x32_fp8_fp8 v[12:15], a[140:141], a[28:29], v[12:15]// 00000000FA24: D3F3000C 1C32398C
	ds_read_b128 a[120:123], v2 offset:36608                   // 00000000FA2C: DBFE8F00 78000002
	ds_read_b128 a[124:127], v2 offset:36672                   // 00000000FA34: DBFE8F40 7C000002
	v_mfma_f32_16x16x32_fp8_fp8 v[12:15], a[142:143], a[30:31], v[12:15]// 00000000FA3C: D3F3000C 1C323D8E
	v_fma_f32 v156, v8, v6, v156                               // 00000000FA44: D1CB009C 06720D08
	v_fma_f32 v157, v9, v6, v157                               // 00000000FA4C: D1CB009D 06760D09
	v_fma_f32 v158, v10, v6, v158                              // 00000000FA54: D1CB009E 067A0D0A
	v_fma_f32 v159, v11, v6, v159                              // 00000000FA5C: D1CB009F 067E0D0B
	v_mul_f32_dpp v4, v28, v50 row_newbcast:0 row_mask:0xf bank_mask:0xf// 00000000FA64: 0A0864FA FF01501C
	v_mfma_f32_16x16x32_fp8_fp8 v[8:11], a[128:129], a[32:33], 0// 00000000FA6C: D3F30008 1A024180
	v_mfma_f32_16x16x32_fp8_fp8 v[8:11], a[130:131], a[34:35], v[8:11]// 00000000FA74: D3F30008 1C224582
	v_mfma_f32_16x16x32_fp8_fp8 v[8:11], a[132:133], a[36:37], v[8:11]// 00000000FA7C: D3F30008 1C224984
	v_mfma_f32_16x16x32_fp8_fp8 v[8:11], a[134:135], a[38:39], v[8:11]// 00000000FA84: D3F30008 1C224D86
	v_fma_f32 v188, v12, v6, v188                              // 00000000FA8C: D1CB00BC 06F20D0C
	v_fma_f32 v189, v13, v6, v189                              // 00000000FA94: D1CB00BD 06F60D0D
	v_fma_f32 v190, v14, v6, v190                              // 00000000FA9C: D1CB00BE 06FA0D0E
	v_fma_f32 v191, v15, v6, v191                              // 00000000FAA4: D1CB00BF 06FE0D0F
	v_mfma_f32_16x16x32_fp8_fp8 v[12:15], a[136:137], a[32:33], 0// 00000000FAAC: D3F3000C 1A024188
	v_mfma_f32_16x16x32_fp8_fp8 v[12:15], a[138:139], a[34:35], v[12:15]// 00000000FAB4: D3F3000C 1C32458A
	v_mfma_f32_16x16x32_fp8_fp8 v[12:15], a[140:141], a[36:37], v[12:15]// 00000000FABC: D3F3000C 1C32498C
	v_mfma_f32_16x16x32_fp8_fp8 v[12:15], a[142:143], a[38:39], v[12:15]// 00000000FAC4: D3F3000C 1C324D8E
	v_fma_f32 v160, v8, v4, v160                               // 00000000FACC: D1CB00A0 06820908
	v_fma_f32 v161, v9, v4, v161                               // 00000000FAD4: D1CB00A1 06860909
	v_fma_f32 v162, v10, v4, v162                              // 00000000FADC: D1CB00A2 068A090A
	v_fma_f32 v163, v11, v4, v163                              // 00000000FAE4: D1CB00A3 068E090B
	v_mul_f32_dpp v6, v28, v51 row_newbcast:0 row_mask:0xf bank_mask:0xf// 00000000FAEC: 0A0C66FA FF01501C
	v_mfma_f32_16x16x32_fp8_fp8 v[8:11], a[128:129], a[40:41], 0// 00000000FAF4: D3F30008 1A025180
	v_mfma_f32_16x16x32_fp8_fp8 v[8:11], a[130:131], a[42:43], v[8:11]// 00000000FAFC: D3F30008 1C225582
	v_mfma_f32_16x16x32_fp8_fp8 v[8:11], a[132:133], a[44:45], v[8:11]// 00000000FB04: D3F30008 1C225984
	v_mfma_f32_16x16x32_fp8_fp8 v[8:11], a[134:135], a[46:47], v[8:11]// 00000000FB0C: D3F30008 1C225D86
	v_fma_f32 v192, v12, v4, v192                              // 00000000FB14: D1CB00C0 0702090C
	v_fma_f32 v193, v13, v4, v193                              // 00000000FB1C: D1CB00C1 0706090D
	v_fma_f32 v194, v14, v4, v194                              // 00000000FB24: D1CB00C2 070A090E
	v_fma_f32 v195, v15, v4, v195                              // 00000000FB2C: D1CB00C3 070E090F
	v_mfma_f32_16x16x32_fp8_fp8 v[12:15], a[136:137], a[40:41], 0// 00000000FB34: D3F3000C 1A025188
	v_mfma_f32_16x16x32_fp8_fp8 v[12:15], a[138:139], a[42:43], v[12:15]// 00000000FB3C: D3F3000C 1C32558A
	v_mfma_f32_16x16x32_fp8_fp8 v[12:15], a[140:141], a[44:45], v[12:15]// 00000000FB44: D3F3000C 1C32598C
	v_mfma_f32_16x16x32_fp8_fp8 v[12:15], a[142:143], a[46:47], v[12:15]// 00000000FB4C: D3F3000C 1C325D8E
	v_fma_f32 v164, v8, v6, v164                               // 00000000FB54: D1CB00A4 06920D08
	v_fma_f32 v165, v9, v6, v165                               // 00000000FB5C: D1CB00A5 06960D09
	v_fma_f32 v166, v10, v6, v166                              // 00000000FB64: D1CB00A6 069A0D0A
	v_fma_f32 v167, v11, v6, v167                              // 00000000FB6C: D1CB00A7 069E0D0B
	v_mul_f32_dpp v4, v28, v52 row_newbcast:0 row_mask:0xf bank_mask:0xf// 00000000FB74: 0A0868FA FF01501C
	v_mfma_f32_16x16x32_fp8_fp8 v[8:11], a[128:129], a[48:49], 0// 00000000FB7C: D3F30008 1A026180
	v_mfma_f32_16x16x32_fp8_fp8 v[8:11], a[130:131], a[50:51], v[8:11]// 00000000FB84: D3F30008 1C226582
	v_mfma_f32_16x16x32_fp8_fp8 v[8:11], a[132:133], a[52:53], v[8:11]// 00000000FB8C: D3F30008 1C226984
	v_mfma_f32_16x16x32_fp8_fp8 v[8:11], a[134:135], a[54:55], v[8:11]// 00000000FB94: D3F30008 1C226D86
	v_fma_f32 v196, v12, v6, v196                              // 00000000FB9C: D1CB00C4 07120D0C
	v_fma_f32 v197, v13, v6, v197                              // 00000000FBA4: D1CB00C5 07160D0D
	v_fma_f32 v198, v14, v6, v198                              // 00000000FBAC: D1CB00C6 071A0D0E
	v_fma_f32 v199, v15, v6, v199                              // 00000000FBB4: D1CB00C7 071E0D0F
	v_mfma_f32_16x16x32_fp8_fp8 v[12:15], a[136:137], a[48:49], 0// 00000000FBBC: D3F3000C 1A026188
	v_mfma_f32_16x16x32_fp8_fp8 v[12:15], a[138:139], a[50:51], v[12:15]// 00000000FBC4: D3F3000C 1C32658A
	v_mfma_f32_16x16x32_fp8_fp8 v[12:15], a[140:141], a[52:53], v[12:15]// 00000000FBCC: D3F3000C 1C32698C
	v_mfma_f32_16x16x32_fp8_fp8 v[12:15], a[142:143], a[54:55], v[12:15]// 00000000FBD4: D3F3000C 1C326D8E
	v_fma_f32 v168, v8, v4, v168                               // 00000000FBDC: D1CB00A8 06A20908
	v_fma_f32 v169, v9, v4, v169                               // 00000000FBE4: D1CB00A9 06A60909
	v_fma_f32 v170, v10, v4, v170                              // 00000000FBEC: D1CB00AA 06AA090A
	v_fma_f32 v171, v11, v4, v171                              // 00000000FBF4: D1CB00AB 06AE090B
	v_mul_f32_dpp v6, v28, v53 row_newbcast:0 row_mask:0xf bank_mask:0xf// 00000000FBFC: 0A0C6AFA FF01501C
	v_mfma_f32_16x16x32_fp8_fp8 v[8:11], a[128:129], a[56:57], 0// 00000000FC04: D3F30008 1A027180
	s_add_u32 s60, 0x180, s80                                  // 00000000FC0C: 803C50FF 00000180
	s_cmp_lt_u32 s60, s81                                      // 00000000FC14: BF0A513C
	s_cselect_b32 s57, s57, 0                                  // 00000000FC18: 85398039
	s_cselect_b32 s3, s3, 0                                    // 00000000FC1C: 85038003
	v_mfma_f32_16x16x32_fp8_fp8 v[8:11], a[130:131], a[58:59], v[8:11]// 00000000FC20: D3F30008 1C227582
	s_add_u32 s60, 0x100, s80                                  // 00000000FC28: 803C50FF 00000100
	s_cmp_lt_u32 s60, s81                                      // 00000000FC30: BF0A513C
	s_cselect_b32 s58, s58, 0                                  // 00000000FC34: 853A803A
	v_mfma_f32_16x16x32_fp8_fp8 v[8:11], a[132:133], a[60:61], v[8:11]// 00000000FC38: D3F30008 1C227984
	s_add_u32 s60, 0x100, s80                                  // 00000000FC40: 803C50FF 00000100
	s_cmp_lt_u32 s60, s81                                      // 00000000FC48: BF0A513C
	s_cselect_b32 s83, s83, 0                                  // 00000000FC4C: 85538053
	s_cselect_b32 s4, s4, 0                                    // 00000000FC50: 85048004
	v_mfma_f32_16x16x32_fp8_fp8 v[8:11], a[134:135], a[62:63], v[8:11]// 00000000FC54: D3F30008 1C227D86
	s_add_u32 s24, s58, s24                                    // 00000000FC5C: 8018183A
	s_addc_u32 s25, 0, s25                                     // 00000000FC60: 82191980
	v_fma_f32 v200, v12, v4, v200                              // 00000000FC64: D1CB00C8 0722090C
	v_fma_f32 v201, v13, v4, v201                              // 00000000FC6C: D1CB00C9 0726090D
	v_fma_f32 v202, v14, v4, v202                              // 00000000FC74: D1CB00CA 072A090E
	v_fma_f32 v203, v15, v4, v203                              // 00000000FC7C: D1CB00CB 072E090F
	v_mfma_f32_16x16x32_fp8_fp8 v[12:15], a[136:137], a[56:57], 0// 00000000FC84: D3F3000C 1A027188
	s_add_u32 s20, s57, s20                                    // 00000000FC8C: 80141439
	s_addc_u32 s21, 0, s21                                     // 00000000FC90: 82151580
	s_add_u32 s28, s3, s28                                     // 00000000FC94: 801C1C03
	s_addc_u32 s29, 0, s29                                     // 00000000FC98: 821D1D80
	v_mfma_f32_16x16x32_fp8_fp8 v[12:15], a[138:139], a[58:59], v[12:15]// 00000000FC9C: D3F3000C 1C32758A
	s_add_u32 s84, s83, s84                                    // 00000000FCA4: 80545453
	s_addc_u32 s85, 0, s85                                     // 00000000FCA8: 82555580
	v_mfma_f32_16x16x32_fp8_fp8 v[12:15], a[140:141], a[60:61], v[12:15]// 00000000FCAC: D3F3000C 1C32798C
	s_add_u32 s32, s4, s32                                     // 00000000FCB4: 80202004
	s_addc_u32 s33, 0, s33                                     // 00000000FCB8: 82212180
	v_mfma_f32_16x16x32_fp8_fp8 v[12:15], a[142:143], a[62:63], v[12:15]// 00000000FCBC: D3F3000C 1C327D8E
	v_fma_f32 v172, v8, v6, v172                               // 00000000FCC4: D1CB00AC 06B20D08
	v_fma_f32 v173, v9, v6, v173                               // 00000000FCCC: D1CB00AD 06B60D09
	v_fma_f32 v174, v10, v6, v174                              // 00000000FCD4: D1CB00AE 06BA0D0A
	v_fma_f32 v175, v11, v6, v175                              // 00000000FCDC: D1CB00AF 06BE0D0B
	v_fma_f32 v204, v12, v6, v204                              // 00000000FCE4: D1CB00CC 07320D0C
	v_fma_f32 v205, v13, v6, v205                              // 00000000FCEC: D1CB00CD 07360D0D
	v_fma_f32 v206, v14, v6, v206                              // 00000000FCF4: D1CB00CE 073A0D0E
	v_fma_f32 v207, v15, v6, v207                              // 00000000FCFC: D1CB00CF 073E0D0F
	s_addk_i32 s80, 0x80                                       // 00000000FD04: B7500080
	s_cmp_lt_i32 s80, s81                                      // 00000000FD08: BF045150
	s_cbranch_scc0 label_3789                                  // 00000000FD0C: BF8402C2
	s_waitcnt vmcnt(29) lgkmcnt(0)                             // 00000000FD10: BF8C407D
	v_mul_f32_dpp v4, v26, v54 row_newbcast:0 row_mask:0xf bank_mask:0xf// 00000000FD14: 0A086CFA FF01501A
	v_mfma_f32_16x16x32_fp8_fp8 v[8:11], a[144:145], a[64:65], 0// 00000000FD1C: D3F30008 1A028190
	buffer_load_dword v24, v22, s[32:35], 0 offen              // 00000000FD24: E0501000 80081816
	buffer_load_dwordx4 a[128:131], v78, s[24:27], 0 offen     // 00000000FD2C: E05C1000 8086804E
	v_mfma_f32_16x16x32_fp8_fp8 v[8:11], a[146:147], a[66:67], v[8:11]// 00000000FD34: D3F30008 1C228592
	v_mfma_f32_16x16x32_fp8_fp8 v[8:11], a[148:149], a[68:69], v[8:11]// 00000000FD3C: D3F30008 1C228994
	v_mfma_f32_16x16x32_fp8_fp8 v[8:11], a[150:151], a[70:71], v[8:11]// 00000000FD44: D3F30008 1C228D96
	v_mfma_f32_16x16x32_fp8_fp8 v[12:15], a[152:153], a[64:65], 0// 00000000FD4C: D3F3000C 1A028198
	buffer_load_dwordx4 a[132:135], v78, s[24:27], 0 offen offset:1024// 00000000FD54: E05C1400 8086844E
	v_mfma_f32_16x16x32_fp8_fp8 v[12:15], a[154:155], a[66:67], v[12:15]// 00000000FD5C: D3F3000C 1C32859A
	v_mfma_f32_16x16x32_fp8_fp8 v[12:15], a[156:157], a[68:69], v[12:15]// 00000000FD64: D3F3000C 1C32899C
	v_mfma_f32_16x16x32_fp8_fp8 v[12:15], a[158:159], a[70:71], v[12:15]// 00000000FD6C: D3F3000C 1C328D9E
	v_fma_f32 v80, v8, v4, v80                                 // 00000000FD74: D1CB0050 05420908
	v_fma_f32 v81, v9, v4, v81                                 // 00000000FD7C: D1CB0051 05460909
	v_fma_f32 v82, v10, v4, v82                                // 00000000FD84: D1CB0052 054A090A
	v_fma_f32 v83, v11, v4, v83                                // 00000000FD8C: D1CB0053 054E090B
	v_mul_f32_dpp v6, v26, v55 row_newbcast:0 row_mask:0xf bank_mask:0xf// 00000000FD94: 0A0C6EFA FF01501A
	v_mfma_f32_16x16x32_fp8_fp8 v[8:11], a[144:145], a[72:73], 0// 00000000FD9C: D3F30008 1A029190
	buffer_load_dwordx4 a[136:139], v79, s[24:27], 0 offen     // 00000000FDA4: E05C1000 8086884F
	v_mfma_f32_16x16x32_fp8_fp8 v[8:11], a[146:147], a[74:75], v[8:11]// 00000000FDAC: D3F30008 1C229592
	v_mfma_f32_16x16x32_fp8_fp8 v[8:11], a[148:149], a[76:77], v[8:11]// 00000000FDB4: D3F30008 1C229994
	v_mfma_f32_16x16x32_fp8_fp8 v[8:11], a[150:151], a[78:79], v[8:11]// 00000000FDBC: D3F30008 1C229D96
	v_fma_f32 v112, v12, v4, v112                              // 00000000FDC4: D1CB0070 05C2090C
	v_fma_f32 v113, v13, v4, v113                              // 00000000FDCC: D1CB0071 05C6090D
	v_fma_f32 v114, v14, v4, v114                              // 00000000FDD4: D1CB0072 05CA090E
	v_fma_f32 v115, v15, v4, v115                              // 00000000FDDC: D1CB0073 05CE090F
	v_mfma_f32_16x16x32_fp8_fp8 v[12:15], a[152:153], a[72:73], 0// 00000000FDE4: D3F3000C 1A029198
	buffer_load_dwordx4 a[140:143], v79, s[24:27], 0 offen offset:1024// 00000000FDEC: E05C1400 80868C4F
	buffer_load_dword v62, s[20:23], 0 offen lds               // 00000000FDF4: E0511000 8005003E
	s_add_u32 m0, 0x100, s49                                   // 00000000FDFC: 807C31FF 00000100
	v_mfma_f32_16x16x32_fp8_fp8 v[12:15], a[154:155], a[74:75], v[12:15]// 00000000FE04: D3F3000C 1C32959A
	v_mfma_f32_16x16x32_fp8_fp8 v[12:15], a[156:157], a[76:77], v[12:15]// 00000000FE0C: D3F3000C 1C32999C
	buffer_load_dword v63, s[20:23], 0 offen lds               // 00000000FE14: E0511000 8005003F
	s_add_u32 m0, 0x200, s49                                   // 00000000FE1C: 807C31FF 00000200
	v_mfma_f32_16x16x32_fp8_fp8 v[12:15], a[158:159], a[78:79], v[12:15]// 00000000FE24: D3F3000C 1C329D9E
	v_fma_f32 v84, v8, v6, v84                                 // 00000000FE2C: D1CB0054 05520D08
	v_fma_f32 v85, v9, v6, v85                                 // 00000000FE34: D1CB0055 05560D09
	v_fma_f32 v86, v10, v6, v86                                // 00000000FE3C: D1CB0056 055A0D0A
	v_fma_f32 v87, v11, v6, v87                                // 00000000FE44: D1CB0057 055E0D0B
	v_mul_f32_dpp v4, v26, v56 row_newbcast:0 row_mask:0xf bank_mask:0xf// 00000000FE4C: 0A0870FA FF01501A
	v_mfma_f32_16x16x32_fp8_fp8 v[8:11], a[144:145], a[80:81], 0// 00000000FE54: D3F30008 1A02A190
	buffer_load_dword v64, s[20:23], 0 offen lds               // 00000000FE5C: E0511000 80050040
	s_add_u32 m0, 0x300, s49                                   // 00000000FE64: 807C31FF 00000300
	v_mfma_f32_16x16x32_fp8_fp8 v[8:11], a[146:147], a[82:83], v[8:11]// 00000000FE6C: D3F30008 1C22A592
	v_mfma_f32_16x16x32_fp8_fp8 v[8:11], a[148:149], a[84:85], v[8:11]// 00000000FE74: D3F30008 1C22A994
	buffer_load_dword v65, s[20:23], 0 offen lds               // 00000000FE7C: E0511000 80050041
	s_add_u32 m0, 0x400, s49                                   // 00000000FE84: 807C31FF 00000400
	v_mfma_f32_16x16x32_fp8_fp8 v[8:11], a[150:151], a[86:87], v[8:11]// 00000000FE8C: D3F30008 1C22AD96
	v_fma_f32 v116, v12, v6, v116                              // 00000000FE94: D1CB0074 05D20D0C
	v_fma_f32 v117, v13, v6, v117                              // 00000000FE9C: D1CB0075 05D60D0D
	v_fma_f32 v118, v14, v6, v118                              // 00000000FEA4: D1CB0076 05DA0D0E
	v_fma_f32 v119, v15, v6, v119                              // 00000000FEAC: D1CB0077 05DE0D0F
	v_mfma_f32_16x16x32_fp8_fp8 v[12:15], a[152:153], a[80:81], 0// 00000000FEB4: D3F3000C 1A02A198
	buffer_load_dword v66, s[20:23], 0 offen lds               // 00000000FEBC: E0511000 80050042
	s_add_u32 m0, 0x500, s49                                   // 00000000FEC4: 807C31FF 00000500
	v_mfma_f32_16x16x32_fp8_fp8 v[12:15], a[154:155], a[82:83], v[12:15]// 00000000FECC: D3F3000C 1C32A59A
	v_mfma_f32_16x16x32_fp8_fp8 v[12:15], a[156:157], a[84:85], v[12:15]// 00000000FED4: D3F3000C 1C32A99C
	buffer_load_dword v67, s[20:23], 0 offen lds               // 00000000FEDC: E0511000 80050043
	s_add_u32 m0, 0x600, s49                                   // 00000000FEE4: 807C31FF 00000600
	v_mfma_f32_16x16x32_fp8_fp8 v[12:15], a[158:159], a[86:87], v[12:15]// 00000000FEEC: D3F3000C 1C32AD9E
	v_fma_f32 v88, v8, v4, v88                                 // 00000000FEF4: D1CB0058 05620908
	v_fma_f32 v89, v9, v4, v89                                 // 00000000FEFC: D1CB0059 05660909
	v_fma_f32 v90, v10, v4, v90                                // 00000000FF04: D1CB005A 056A090A
	v_fma_f32 v91, v11, v4, v91                                // 00000000FF0C: D1CB005B 056E090B
	v_mul_f32_dpp v6, v26, v57 row_newbcast:0 row_mask:0xf bank_mask:0xf// 00000000FF14: 0A0C72FA FF01501A
	v_mfma_f32_16x16x32_fp8_fp8 v[8:11], a[144:145], a[88:89], 0// 00000000FF1C: D3F30008 1A02B190
	buffer_load_dword v68, s[20:23], 0 offen lds               // 00000000FF24: E0511000 80050044
	s_add_u32 m0, 0x700, s49                                   // 00000000FF2C: 807C31FF 00000700
	v_mfma_f32_16x16x32_fp8_fp8 v[8:11], a[146:147], a[90:91], v[8:11]// 00000000FF34: D3F30008 1C22B592
	v_mfma_f32_16x16x32_fp8_fp8 v[8:11], a[148:149], a[92:93], v[8:11]// 00000000FF3C: D3F30008 1C22B994
	buffer_load_dword v69, s[20:23], 0 offen lds               // 00000000FF44: E0511000 80050045
	s_add_u32 m0, 0x800, s49                                   // 00000000FF4C: 807C31FF 00000800
	v_mfma_f32_16x16x32_fp8_fp8 v[8:11], a[150:151], a[94:95], v[8:11]// 00000000FF54: D3F30008 1C22BD96
	v_fma_f32 v120, v12, v4, v120                              // 00000000FF5C: D1CB0078 05E2090C
	v_fma_f32 v121, v13, v4, v121                              // 00000000FF64: D1CB0079 05E6090D
	v_fma_f32 v122, v14, v4, v122                              // 00000000FF6C: D1CB007A 05EA090E
	v_fma_f32 v123, v15, v4, v123                              // 00000000FF74: D1CB007B 05EE090F
	v_mfma_f32_16x16x32_fp8_fp8 v[12:15], a[152:153], a[88:89], 0// 00000000FF7C: D3F3000C 1A02B198
	buffer_load_dword v70, s[20:23], 0 offen lds               // 00000000FF84: E0511000 80050046
	s_add_u32 m0, 0x900, s49                                   // 00000000FF8C: 807C31FF 00000900
	v_mfma_f32_16x16x32_fp8_fp8 v[12:15], a[154:155], a[90:91], v[12:15]// 00000000FF94: D3F3000C 1C32B59A
	v_mfma_f32_16x16x32_fp8_fp8 v[12:15], a[156:157], a[92:93], v[12:15]// 00000000FF9C: D3F3000C 1C32B99C
	buffer_load_dword v71, s[20:23], 0 offen lds               // 00000000FFA4: E0511000 80050047
	s_add_u32 m0, 0xa00, s49                                   // 00000000FFAC: 807C31FF 00000A00
	v_mfma_f32_16x16x32_fp8_fp8 v[12:15], a[158:159], a[94:95], v[12:15]// 00000000FFB4: D3F3000C 1C32BD9E
	v_fma_f32 v92, v8, v6, v92                                 // 00000000FFBC: D1CB005C 05720D08
	v_fma_f32 v93, v9, v6, v93                                 // 00000000FFC4: D1CB005D 05760D09
	v_fma_f32 v94, v10, v6, v94                                // 00000000FFCC: D1CB005E 057A0D0A
	v_fma_f32 v95, v11, v6, v95                                // 00000000FFD4: D1CB005F 057E0D0B
	v_mul_f32_dpp v4, v26, v58 row_newbcast:0 row_mask:0xf bank_mask:0xf// 00000000FFDC: 0A0874FA FF01501A
	v_mfma_f32_16x16x32_fp8_fp8 v[8:11], a[144:145], a[96:97], 0// 00000000FFE4: D3F30008 1A02C190
	buffer_load_dword v72, s[20:23], 0 offen lds               // 00000000FFEC: E0511000 80050048
	s_add_u32 m0, 0xb00, s49                                   // 00000000FFF4: 807C31FF 00000B00
	v_mfma_f32_16x16x32_fp8_fp8 v[8:11], a[146:147], a[98:99], v[8:11]// 00000000FFFC: D3F30008 1C22C592
	v_mfma_f32_16x16x32_fp8_fp8 v[8:11], a[148:149], a[100:101], v[8:11]// 000000010004: D3F30008 1C22C994
	buffer_load_dword v73, s[20:23], 0 offen lds               // 00000001000C: E0511000 80050049
	s_add_u32 m0, 0xc00, s49                                   // 000000010014: 807C31FF 00000C00
	v_mfma_f32_16x16x32_fp8_fp8 v[8:11], a[150:151], a[102:103], v[8:11]// 00000001001C: D3F30008 1C22CD96
	v_fma_f32 v124, v12, v6, v124                              // 000000010024: D1CB007C 05F20D0C
	v_fma_f32 v125, v13, v6, v125                              // 00000001002C: D1CB007D 05F60D0D
	v_fma_f32 v126, v14, v6, v126                              // 000000010034: D1CB007E 05FA0D0E
	v_fma_f32 v127, v15, v6, v127                              // 00000001003C: D1CB007F 05FE0D0F
	v_mfma_f32_16x16x32_fp8_fp8 v[12:15], a[152:153], a[96:97], 0// 000000010044: D3F3000C 1A02C198
	buffer_load_dword v74, s[20:23], 0 offen lds               // 00000001004C: E0511000 8005004A
	s_add_u32 m0, 0xd00, s49                                   // 000000010054: 807C31FF 00000D00
	v_mfma_f32_16x16x32_fp8_fp8 v[12:15], a[154:155], a[98:99], v[12:15]// 00000001005C: D3F3000C 1C32C59A
	v_mfma_f32_16x16x32_fp8_fp8 v[12:15], a[156:157], a[100:101], v[12:15]// 000000010064: D3F3000C 1C32C99C
	buffer_load_dword v75, s[20:23], 0 offen lds               // 00000001006C: E0511000 8005004B
	s_add_u32 m0, 0xe00, s49                                   // 000000010074: 807C31FF 00000E00
	v_mfma_f32_16x16x32_fp8_fp8 v[12:15], a[158:159], a[102:103], v[12:15]// 00000001007C: D3F3000C 1C32CD9E
	v_fma_f32 v96, v8, v4, v96                                 // 000000010084: D1CB0060 05820908
	v_fma_f32 v97, v9, v4, v97                                 // 00000001008C: D1CB0061 05860909
	v_fma_f32 v98, v10, v4, v98                                // 000000010094: D1CB0062 058A090A
	v_fma_f32 v99, v11, v4, v99                                // 00000001009C: D1CB0063 058E090B
	v_mul_f32_dpp v6, v26, v59 row_newbcast:0 row_mask:0xf bank_mask:0xf// 0000000100A4: 0A0C76FA FF01501A
	v_mfma_f32_16x16x32_fp8_fp8 v[8:11], a[144:145], a[104:105], 0// 0000000100AC: D3F30008 1A02D190
	buffer_load_dword v76, s[20:23], 0 offen lds               // 0000000100B4: E0511000 8005004C
	s_add_u32 m0, 0xf00, s49                                   // 0000000100BC: 807C31FF 00000F00
	v_mfma_f32_16x16x32_fp8_fp8 v[8:11], a[146:147], a[106:107], v[8:11]// 0000000100C4: D3F30008 1C22D592
	v_mfma_f32_16x16x32_fp8_fp8 v[8:11], a[148:149], a[108:109], v[8:11]// 0000000100CC: D3F30008 1C22D994
	buffer_load_dword v77, s[20:23], 0 offen lds               // 0000000100D4: E0511000 8005004D
	s_add_u32 m0, 0, s50                                       // 0000000100DC: 807C3280
	v_mfma_f32_16x16x32_fp8_fp8 v[8:11], a[150:151], a[110:111], v[8:11]// 0000000100E0: D3F30008 1C22DD96
	v_fma_f32 v128, v12, v4, v128                              // 0000000100E8: D1CB0080 0602090C
	v_fma_f32 v129, v13, v4, v129                              // 0000000100F0: D1CB0081 0606090D
	v_fma_f32 v130, v14, v4, v130                              // 0000000100F8: D1CB0082 060A090E
	v_fma_f32 v131, v15, v4, v131                              // 000000010100: D1CB0083 060E090F
	v_mfma_f32_16x16x32_fp8_fp8 v[12:15], a[152:153], a[104:105], 0// 000000010108: D3F3000C 1A02D198
	buffer_load_dword v46, v30, s[28:31], 0 offen              // 000000010110: E0501000 80072E1E
	v_mfma_f32_16x16x32_fp8_fp8 v[12:15], a[154:155], a[106:107], v[12:15]// 000000010118: D3F3000C 1C32D59A
	v_mfma_f32_16x16x32_fp8_fp8 v[12:15], a[156:157], a[108:109], v[12:15]// 000000010120: D3F3000C 1C32D99C
	buffer_load_dword v47, v31, s[28:31], 0 offen              // 000000010128: E0501000 80072F1F
	v_mfma_f32_16x16x32_fp8_fp8 v[12:15], a[158:159], a[110:111], v[12:15]// 000000010130: D3F3000C 1C32DD9E
	v_fma_f32 v100, v8, v6, v100                               // 000000010138: D1CB0064 05920D08
	v_fma_f32 v101, v9, v6, v101                               // 000000010140: D1CB0065 05960D09
	v_fma_f32 v102, v10, v6, v102                              // 000000010148: D1CB0066 059A0D0A
	v_fma_f32 v103, v11, v6, v103                              // 000000010150: D1CB0067 059E0D0B
	v_mul_f32_dpp v4, v26, v60 row_newbcast:0 row_mask:0xf bank_mask:0xf// 000000010158: 0A0878FA FF01501A
	v_mfma_f32_16x16x32_fp8_fp8 v[8:11], a[144:145], a[112:113], 0// 000000010160: D3F30008 1A02E190
	buffer_load_dword v48, v32, s[28:31], 0 offen              // 000000010168: E0501000 80073020
	v_mfma_f32_16x16x32_fp8_fp8 v[8:11], a[146:147], a[114:115], v[8:11]// 000000010170: D3F30008 1C22E592
	v_mfma_f32_16x16x32_fp8_fp8 v[8:11], a[148:149], a[116:117], v[8:11]// 000000010178: D3F30008 1C22E994
	buffer_load_dword v49, v33, s[28:31], 0 offen              // 000000010180: E0501000 80073121
	v_mfma_f32_16x16x32_fp8_fp8 v[8:11], a[150:151], a[118:119], v[8:11]// 000000010188: D3F30008 1C22ED96
	v_fma_f32 v132, v12, v6, v132                              // 000000010190: D1CB0084 06120D0C
	v_fma_f32 v133, v13, v6, v133                              // 000000010198: D1CB0085 06160D0D
	v_fma_f32 v134, v14, v6, v134                              // 0000000101A0: D1CB0086 061A0D0E
	v_fma_f32 v135, v15, v6, v135                              // 0000000101A8: D1CB0087 061E0D0F
	v_mfma_f32_16x16x32_fp8_fp8 v[12:15], a[152:153], a[112:113], 0// 0000000101B0: D3F3000C 1A02E198
	buffer_load_dword v50, v34, s[28:31], 0 offen              // 0000000101B8: E0501000 80073222
	v_mfma_f32_16x16x32_fp8_fp8 v[12:15], a[154:155], a[114:115], v[12:15]// 0000000101C0: D3F3000C 1C32E59A
	v_mfma_f32_16x16x32_fp8_fp8 v[12:15], a[156:157], a[116:117], v[12:15]// 0000000101C8: D3F3000C 1C32E99C
	buffer_load_dword v51, v35, s[28:31], 0 offen              // 0000000101D0: E0501000 80073323
	v_mfma_f32_16x16x32_fp8_fp8 v[12:15], a[158:159], a[118:119], v[12:15]// 0000000101D8: D3F3000C 1C32ED9E
	v_fma_f32 v104, v8, v4, v104                               // 0000000101E0: D1CB0068 05A20908
	v_fma_f32 v105, v9, v4, v105                               // 0000000101E8: D1CB0069 05A60909
	v_fma_f32 v106, v10, v4, v106                              // 0000000101F0: D1CB006A 05AA090A
	v_fma_f32 v107, v11, v4, v107                              // 0000000101F8: D1CB006B 05AE090B
	v_mul_f32_dpp v6, v26, v61 row_newbcast:0 row_mask:0xf bank_mask:0xf// 000000010200: 0A0C7AFA FF01501A
	v_mfma_f32_16x16x32_fp8_fp8 v[8:11], a[144:145], a[120:121], 0// 000000010208: D3F30008 1A02F190
	buffer_load_dword v52, v36, s[28:31], 0 offen              // 000000010210: E0501000 80073424
	v_mfma_f32_16x16x32_fp8_fp8 v[8:11], a[146:147], a[122:123], v[8:11]// 000000010218: D3F30008 1C22F592
	v_mfma_f32_16x16x32_fp8_fp8 v[8:11], a[148:149], a[124:125], v[8:11]// 000000010220: D3F30008 1C22F994
	buffer_load_dword v53, v37, s[28:31], 0 offen              // 000000010228: E0501000 80073525
	v_mfma_f32_16x16x32_fp8_fp8 v[8:11], a[150:151], a[126:127], v[8:11]// 000000010230: D3F30008 1C22FD96
	v_fma_f32 v136, v12, v4, v136                              // 000000010238: D1CB0088 0622090C
	v_fma_f32 v137, v13, v4, v137                              // 000000010240: D1CB0089 0626090D
	v_fma_f32 v138, v14, v4, v138                              // 000000010248: D1CB008A 062A090E
	v_fma_f32 v139, v15, v4, v139                              // 000000010250: D1CB008B 062E090F
	v_mfma_f32_16x16x32_fp8_fp8 v[12:15], a[152:153], a[120:121], 0// 000000010258: D3F3000C 1A02F198
	v_mfma_f32_16x16x32_fp8_fp8 v[12:15], a[154:155], a[122:123], v[12:15]// 000000010260: D3F3000C 1C32F59A
	v_mfma_f32_16x16x32_fp8_fp8 v[12:15], a[156:157], a[124:125], v[12:15]// 000000010268: D3F3000C 1C32F99C
	v_mfma_f32_16x16x32_fp8_fp8 v[12:15], a[158:159], a[126:127], v[12:15]// 000000010270: D3F3000C 1C32FD9E
	v_fma_f32 v108, v8, v6, v108                               // 000000010278: D1CB006C 05B20D08
	v_fma_f32 v109, v9, v6, v109                               // 000000010280: D1CB006D 05B60D09
	v_fma_f32 v110, v10, v6, v110                              // 000000010288: D1CB006E 05BA0D0A
	v_fma_f32 v111, v11, v6, v111                              // 000000010290: D1CB006F 05BE0D0B
	v_fma_f32 v140, v12, v6, v140                              // 000000010298: D1CB008C 06320D0C
	v_fma_f32 v141, v13, v6, v141                              // 0000000102A0: D1CB008D 06360D0D
	v_fma_f32 v142, v14, v6, v142                              // 0000000102A8: D1CB008E 063A0D0E
	v_fma_f32 v143, v15, v6, v143                              // 0000000102B0: D1CB008F 063E0D0F
	s_waitcnt vmcnt(29)                                        // 0000000102B8: BF8C4F7D
	s_barrier                                                  // 0000000102BC: BF8A0000
	v_mul_f32_dpp v4, v29, v54 row_newbcast:0 row_mask:0xf bank_mask:0xf// 0000000102C0: 0A086CFA FF01501D
	v_mfma_f32_16x16x32_fp8_fp8 v[8:11], a[160:161], a[64:65], 0// 0000000102C8: D3F30008 1A0281A0
	buffer_load_dword v27, v23, s[32:35], 0 offen              // 0000000102D0: E0501000 80081B17
	buffer_load_dwordx4 a[144:147], v78, s[84:87], 0 offen     // 0000000102D8: E05C1000 8095904E
	v_mfma_f32_16x16x32_fp8_fp8 v[8:11], a[162:163], a[66:67], v[8:11]// 0000000102E0: D3F30008 1C2285A2
	v_mfma_f32_16x16x32_fp8_fp8 v[8:11], a[164:165], a[68:69], v[8:11]// 0000000102E8: D3F30008 1C2289A4
	ds_read_b128 a[0:3], v2                                    // 0000000102F0: DBFE0000 00000002
	ds_read_b128 a[4:7], v2 offset:64                          // 0000000102F8: DBFE0040 04000002
	v_mfma_f32_16x16x32_fp8_fp8 v[8:11], a[166:167], a[70:71], v[8:11]// 000000010300: D3F30008 1C228DA6
	v_mfma_f32_16x16x32_fp8_fp8 v[12:15], a[168:169], a[64:65], 0// 000000010308: D3F3000C 1A0281A8
	buffer_load_dwordx4 a[148:151], v78, s[84:87], 0 offen offset:1024// 000000010310: E05C1400 8095944E
	v_mfma_f32_16x16x32_fp8_fp8 v[12:15], a[170:171], a[66:67], v[12:15]// 000000010318: D3F3000C 1C3285AA
	v_mfma_f32_16x16x32_fp8_fp8 v[12:15], a[172:173], a[68:69], v[12:15]// 000000010320: D3F3000C 1C3289AC
	ds_read_b128 a[8:11], v2 offset:512                        // 000000010328: DBFE0200 08000002
	ds_read_b128 a[12:15], v2 offset:576                       // 000000010330: DBFE0240 0C000002
	v_mfma_f32_16x16x32_fp8_fp8 v[12:15], a[174:175], a[70:71], v[12:15]// 000000010338: D3F3000C 1C328DAE
	v_fma_f32 v144, v8, v4, v144                               // 000000010340: D1CB0090 06420908
	v_fma_f32 v145, v9, v4, v145                               // 000000010348: D1CB0091 06460909
	v_fma_f32 v146, v10, v4, v146                              // 000000010350: D1CB0092 064A090A
	v_fma_f32 v147, v11, v4, v147                              // 000000010358: D1CB0093 064E090B
	v_mul_f32_dpp v6, v29, v55 row_newbcast:0 row_mask:0xf bank_mask:0xf// 000000010360: 0A0C6EFA FF01501D
	v_mfma_f32_16x16x32_fp8_fp8 v[8:11], a[160:161], a[72:73], 0// 000000010368: D3F30008 1A0291A0
	buffer_load_dwordx4 a[152:155], v79, s[84:87], 0 offen     // 000000010370: E05C1000 8095984F
	v_mfma_f32_16x16x32_fp8_fp8 v[8:11], a[162:163], a[74:75], v[8:11]// 000000010378: D3F30008 1C2295A2
	v_mfma_f32_16x16x32_fp8_fp8 v[8:11], a[164:165], a[76:77], v[8:11]// 000000010380: D3F30008 1C2299A4
	ds_read_b128 a[16:19], v2 offset:1024                      // 000000010388: DBFE0400 10000002
	ds_read_b128 a[20:23], v2 offset:1088                      // 000000010390: DBFE0440 14000002
	v_mfma_f32_16x16x32_fp8_fp8 v[8:11], a[166:167], a[78:79], v[8:11]// 000000010398: D3F30008 1C229DA6
	v_fma_f32 v176, v12, v4, v176                              // 0000000103A0: D1CB00B0 06C2090C
	v_fma_f32 v177, v13, v4, v177                              // 0000000103A8: D1CB00B1 06C6090D
	v_fma_f32 v178, v14, v4, v178                              // 0000000103B0: D1CB00B2 06CA090E
	v_fma_f32 v179, v15, v4, v179                              // 0000000103B8: D1CB00B3 06CE090F
	v_mfma_f32_16x16x32_fp8_fp8 v[12:15], a[168:169], a[72:73], 0// 0000000103C0: D3F3000C 1A0291A8
	buffer_load_dwordx4 a[156:159], v79, s[84:87], 0 offen offset:1024// 0000000103C8: E05C1400 80959C4F
	v_mfma_f32_16x16x32_fp8_fp8 v[12:15], a[170:171], a[74:75], v[12:15]// 0000000103D0: D3F3000C 1C3295AA
	v_mfma_f32_16x16x32_fp8_fp8 v[12:15], a[172:173], a[76:77], v[12:15]// 0000000103D8: D3F3000C 1C3299AC
	ds_read_b128 a[24:27], v2 offset:1536                      // 0000000103E0: DBFE0600 18000002
	ds_read_b128 a[28:31], v2 offset:1600                      // 0000000103E8: DBFE0640 1C000002
	v_mfma_f32_16x16x32_fp8_fp8 v[12:15], a[174:175], a[78:79], v[12:15]// 0000000103F0: D3F3000C 1C329DAE
	v_fma_f32 v148, v8, v6, v148                               // 0000000103F8: D1CB0094 06520D08
	v_fma_f32 v149, v9, v6, v149                               // 000000010400: D1CB0095 06560D09
	v_fma_f32 v150, v10, v6, v150                              // 000000010408: D1CB0096 065A0D0A
	v_fma_f32 v151, v11, v6, v151                              // 000000010410: D1CB0097 065E0D0B
	v_mul_f32_dpp v4, v29, v56 row_newbcast:0 row_mask:0xf bank_mask:0xf// 000000010418: 0A0870FA FF01501D
	v_mfma_f32_16x16x32_fp8_fp8 v[8:11], a[160:161], a[80:81], 0// 000000010420: D3F30008 1A02A1A0
	v_mfma_f32_16x16x32_fp8_fp8 v[8:11], a[162:163], a[82:83], v[8:11]// 000000010428: D3F30008 1C22A5A2
	v_mfma_f32_16x16x32_fp8_fp8 v[8:11], a[164:165], a[84:85], v[8:11]// 000000010430: D3F30008 1C22A9A4
	ds_read_b128 a[32:35], v2 offset:2048                      // 000000010438: DBFE0800 20000002
	ds_read_b128 a[36:39], v2 offset:2112                      // 000000010440: DBFE0840 24000002
	v_mfma_f32_16x16x32_fp8_fp8 v[8:11], a[166:167], a[86:87], v[8:11]// 000000010448: D3F30008 1C22ADA6
	v_fma_f32 v180, v12, v6, v180                              // 000000010450: D1CB00B4 06D20D0C
	v_fma_f32 v181, v13, v6, v181                              // 000000010458: D1CB00B5 06D60D0D
	v_fma_f32 v182, v14, v6, v182                              // 000000010460: D1CB00B6 06DA0D0E
	v_fma_f32 v183, v15, v6, v183                              // 000000010468: D1CB00B7 06DE0D0F
	v_mfma_f32_16x16x32_fp8_fp8 v[12:15], a[168:169], a[80:81], 0// 000000010470: D3F3000C 1A02A1A8
	v_mfma_f32_16x16x32_fp8_fp8 v[12:15], a[170:171], a[82:83], v[12:15]// 000000010478: D3F3000C 1C32A5AA
	v_mfma_f32_16x16x32_fp8_fp8 v[12:15], a[172:173], a[84:85], v[12:15]// 000000010480: D3F3000C 1C32A9AC
	ds_read_b128 a[40:43], v2 offset:2560                      // 000000010488: DBFE0A00 28000002
	ds_read_b128 a[44:47], v2 offset:2624                      // 000000010490: DBFE0A40 2C000002
	v_mfma_f32_16x16x32_fp8_fp8 v[12:15], a[174:175], a[86:87], v[12:15]// 000000010498: D3F3000C 1C32ADAE
	v_fma_f32 v152, v8, v4, v152                               // 0000000104A0: D1CB0098 06620908
	v_fma_f32 v153, v9, v4, v153                               // 0000000104A8: D1CB0099 06660909
	v_fma_f32 v154, v10, v4, v154                              // 0000000104B0: D1CB009A 066A090A
	v_fma_f32 v155, v11, v4, v155                              // 0000000104B8: D1CB009B 066E090B
	v_mul_f32_dpp v6, v29, v57 row_newbcast:0 row_mask:0xf bank_mask:0xf// 0000000104C0: 0A0C72FA FF01501D
	v_mfma_f32_16x16x32_fp8_fp8 v[8:11], a[160:161], a[88:89], 0// 0000000104C8: D3F30008 1A02B1A0
	v_mfma_f32_16x16x32_fp8_fp8 v[8:11], a[162:163], a[90:91], v[8:11]// 0000000104D0: D3F30008 1C22B5A2
	v_mfma_f32_16x16x32_fp8_fp8 v[8:11], a[164:165], a[92:93], v[8:11]// 0000000104D8: D3F30008 1C22B9A4
	ds_read_b128 a[48:51], v2 offset:3072                      // 0000000104E0: DBFE0C00 30000002
	ds_read_b128 a[52:55], v2 offset:3136                      // 0000000104E8: DBFE0C40 34000002
	v_mfma_f32_16x16x32_fp8_fp8 v[8:11], a[166:167], a[94:95], v[8:11]// 0000000104F0: D3F30008 1C22BDA6
	v_fma_f32 v184, v12, v4, v184                              // 0000000104F8: D1CB00B8 06E2090C
	v_fma_f32 v185, v13, v4, v185                              // 000000010500: D1CB00B9 06E6090D
	v_fma_f32 v186, v14, v4, v186                              // 000000010508: D1CB00BA 06EA090E
	v_fma_f32 v187, v15, v4, v187                              // 000000010510: D1CB00BB 06EE090F
	v_mfma_f32_16x16x32_fp8_fp8 v[12:15], a[168:169], a[88:89], 0// 000000010518: D3F3000C 1A02B1A8
	v_mfma_f32_16x16x32_fp8_fp8 v[12:15], a[170:171], a[90:91], v[12:15]// 000000010520: D3F3000C 1C32B5AA
	v_mfma_f32_16x16x32_fp8_fp8 v[12:15], a[172:173], a[92:93], v[12:15]// 000000010528: D3F3000C 1C32B9AC
	ds_read_b128 a[56:59], v2 offset:3584                      // 000000010530: DBFE0E00 38000002
	ds_read_b128 a[60:63], v2 offset:3648                      // 000000010538: DBFE0E40 3C000002
	v_mfma_f32_16x16x32_fp8_fp8 v[12:15], a[174:175], a[94:95], v[12:15]// 000000010540: D3F3000C 1C32BDAE
	v_fma_f32 v156, v8, v6, v156                               // 000000010548: D1CB009C 06720D08
	v_fma_f32 v157, v9, v6, v157                               // 000000010550: D1CB009D 06760D09
	v_fma_f32 v158, v10, v6, v158                              // 000000010558: D1CB009E 067A0D0A
	v_fma_f32 v159, v11, v6, v159                              // 000000010560: D1CB009F 067E0D0B
	v_mul_f32_dpp v4, v29, v58 row_newbcast:0 row_mask:0xf bank_mask:0xf// 000000010568: 0A0874FA FF01501D
	v_mfma_f32_16x16x32_fp8_fp8 v[8:11], a[160:161], a[96:97], 0// 000000010570: D3F30008 1A02C1A0
	v_mfma_f32_16x16x32_fp8_fp8 v[8:11], a[162:163], a[98:99], v[8:11]// 000000010578: D3F30008 1C22C5A2
	v_mfma_f32_16x16x32_fp8_fp8 v[8:11], a[164:165], a[100:101], v[8:11]// 000000010580: D3F30008 1C22C9A4
	v_mfma_f32_16x16x32_fp8_fp8 v[8:11], a[166:167], a[102:103], v[8:11]// 000000010588: D3F30008 1C22CDA6
	v_fma_f32 v188, v12, v6, v188                              // 000000010590: D1CB00BC 06F20D0C
	v_fma_f32 v189, v13, v6, v189                              // 000000010598: D1CB00BD 06F60D0D
	v_fma_f32 v190, v14, v6, v190                              // 0000000105A0: D1CB00BE 06FA0D0E
	v_fma_f32 v191, v15, v6, v191                              // 0000000105A8: D1CB00BF 06FE0D0F
	v_mfma_f32_16x16x32_fp8_fp8 v[12:15], a[168:169], a[96:97], 0// 0000000105B0: D3F3000C 1A02C1A8
	v_mfma_f32_16x16x32_fp8_fp8 v[12:15], a[170:171], a[98:99], v[12:15]// 0000000105B8: D3F3000C 1C32C5AA
	v_mfma_f32_16x16x32_fp8_fp8 v[12:15], a[172:173], a[100:101], v[12:15]// 0000000105C0: D3F3000C 1C32C9AC
	v_mfma_f32_16x16x32_fp8_fp8 v[12:15], a[174:175], a[102:103], v[12:15]// 0000000105C8: D3F3000C 1C32CDAE
	v_fma_f32 v160, v8, v4, v160                               // 0000000105D0: D1CB00A0 06820908
	v_fma_f32 v161, v9, v4, v161                               // 0000000105D8: D1CB00A1 06860909
	v_fma_f32 v162, v10, v4, v162                              // 0000000105E0: D1CB00A2 068A090A
	v_fma_f32 v163, v11, v4, v163                              // 0000000105E8: D1CB00A3 068E090B
	v_mul_f32_dpp v6, v29, v59 row_newbcast:0 row_mask:0xf bank_mask:0xf// 0000000105F0: 0A0C76FA FF01501D
	v_mfma_f32_16x16x32_fp8_fp8 v[8:11], a[160:161], a[104:105], 0// 0000000105F8: D3F30008 1A02D1A0
	v_mfma_f32_16x16x32_fp8_fp8 v[8:11], a[162:163], a[106:107], v[8:11]// 000000010600: D3F30008 1C22D5A2
	v_mfma_f32_16x16x32_fp8_fp8 v[8:11], a[164:165], a[108:109], v[8:11]// 000000010608: D3F30008 1C22D9A4
	v_mfma_f32_16x16x32_fp8_fp8 v[8:11], a[166:167], a[110:111], v[8:11]// 000000010610: D3F30008 1C22DDA6
	v_fma_f32 v192, v12, v4, v192                              // 000000010618: D1CB00C0 0702090C
	v_fma_f32 v193, v13, v4, v193                              // 000000010620: D1CB00C1 0706090D
	v_fma_f32 v194, v14, v4, v194                              // 000000010628: D1CB00C2 070A090E
	v_fma_f32 v195, v15, v4, v195                              // 000000010630: D1CB00C3 070E090F
	v_mfma_f32_16x16x32_fp8_fp8 v[12:15], a[168:169], a[104:105], 0// 000000010638: D3F3000C 1A02D1A8
	v_mfma_f32_16x16x32_fp8_fp8 v[12:15], a[170:171], a[106:107], v[12:15]// 000000010640: D3F3000C 1C32D5AA
	v_mfma_f32_16x16x32_fp8_fp8 v[12:15], a[172:173], a[108:109], v[12:15]// 000000010648: D3F3000C 1C32D9AC
	v_mfma_f32_16x16x32_fp8_fp8 v[12:15], a[174:175], a[110:111], v[12:15]// 000000010650: D3F3000C 1C32DDAE
	v_fma_f32 v164, v8, v6, v164                               // 000000010658: D1CB00A4 06920D08
	v_fma_f32 v165, v9, v6, v165                               // 000000010660: D1CB00A5 06960D09
	v_fma_f32 v166, v10, v6, v166                              // 000000010668: D1CB00A6 069A0D0A
	v_fma_f32 v167, v11, v6, v167                              // 000000010670: D1CB00A7 069E0D0B
	v_mul_f32_dpp v4, v29, v60 row_newbcast:0 row_mask:0xf bank_mask:0xf// 000000010678: 0A0878FA FF01501D
	v_mfma_f32_16x16x32_fp8_fp8 v[8:11], a[160:161], a[112:113], 0// 000000010680: D3F30008 1A02E1A0
	v_mfma_f32_16x16x32_fp8_fp8 v[8:11], a[162:163], a[114:115], v[8:11]// 000000010688: D3F30008 1C22E5A2
	v_mfma_f32_16x16x32_fp8_fp8 v[8:11], a[164:165], a[116:117], v[8:11]// 000000010690: D3F30008 1C22E9A4
	v_mfma_f32_16x16x32_fp8_fp8 v[8:11], a[166:167], a[118:119], v[8:11]// 000000010698: D3F30008 1C22EDA6
	v_fma_f32 v196, v12, v6, v196                              // 0000000106A0: D1CB00C4 07120D0C
	v_fma_f32 v197, v13, v6, v197                              // 0000000106A8: D1CB00C5 07160D0D
	v_fma_f32 v198, v14, v6, v198                              // 0000000106B0: D1CB00C6 071A0D0E
	v_fma_f32 v199, v15, v6, v199                              // 0000000106B8: D1CB00C7 071E0D0F
	v_mfma_f32_16x16x32_fp8_fp8 v[12:15], a[168:169], a[112:113], 0// 0000000106C0: D3F3000C 1A02E1A8
	v_mfma_f32_16x16x32_fp8_fp8 v[12:15], a[170:171], a[114:115], v[12:15]// 0000000106C8: D3F3000C 1C32E5AA
	v_mfma_f32_16x16x32_fp8_fp8 v[12:15], a[172:173], a[116:117], v[12:15]// 0000000106D0: D3F3000C 1C32E9AC
	v_mfma_f32_16x16x32_fp8_fp8 v[12:15], a[174:175], a[118:119], v[12:15]// 0000000106D8: D3F3000C 1C32EDAE
	v_fma_f32 v168, v8, v4, v168                               // 0000000106E0: D1CB00A8 06A20908
	v_fma_f32 v169, v9, v4, v169                               // 0000000106E8: D1CB00A9 06A60909
	v_fma_f32 v170, v10, v4, v170                              // 0000000106F0: D1CB00AA 06AA090A
	v_fma_f32 v171, v11, v4, v171                              // 0000000106F8: D1CB00AB 06AE090B
	v_mul_f32_dpp v6, v29, v61 row_newbcast:0 row_mask:0xf bank_mask:0xf// 000000010700: 0A0C7AFA FF01501D
	v_mfma_f32_16x16x32_fp8_fp8 v[8:11], a[160:161], a[120:121], 0// 000000010708: D3F30008 1A02F1A0
	s_add_u32 s60, 0x180, s80                                  // 000000010710: 803C50FF 00000180
	s_cmp_lt_u32 s60, s81                                      // 000000010718: BF0A513C
	s_cselect_b32 s57, s57, 0                                  // 00000001071C: 85398039
	s_cselect_b32 s3, s3, 0                                    // 000000010720: 85038003
	v_mfma_f32_16x16x32_fp8_fp8 v[8:11], a[162:163], a[122:123], v[8:11]// 000000010724: D3F30008 1C22F5A2
	s_add_u32 s60, 0x100, s80                                  // 00000001072C: 803C50FF 00000100
	s_cmp_lt_u32 s60, s81                                      // 000000010734: BF0A513C
	s_cselect_b32 s58, s58, 0                                  // 000000010738: 853A803A
	v_mfma_f32_16x16x32_fp8_fp8 v[8:11], a[164:165], a[124:125], v[8:11]// 00000001073C: D3F30008 1C22F9A4
	s_add_u32 s60, 0x100, s80                                  // 000000010744: 803C50FF 00000100
	s_cmp_lt_u32 s60, s81                                      // 00000001074C: BF0A513C
	s_cselect_b32 s83, s83, 0                                  // 000000010750: 85538053
	s_cselect_b32 s4, s4, 0                                    // 000000010754: 85048004
	v_mfma_f32_16x16x32_fp8_fp8 v[8:11], a[166:167], a[126:127], v[8:11]// 000000010758: D3F30008 1C22FDA6
	s_add_u32 s24, s58, s24                                    // 000000010760: 8018183A
	s_addc_u32 s25, 0, s25                                     // 000000010764: 82191980
	v_fma_f32 v200, v12, v4, v200                              // 000000010768: D1CB00C8 0722090C
	v_fma_f32 v201, v13, v4, v201                              // 000000010770: D1CB00C9 0726090D
	v_fma_f32 v202, v14, v4, v202                              // 000000010778: D1CB00CA 072A090E
	v_fma_f32 v203, v15, v4, v203                              // 000000010780: D1CB00CB 072E090F
	v_mfma_f32_16x16x32_fp8_fp8 v[12:15], a[168:169], a[120:121], 0// 000000010788: D3F3000C 1A02F1A8
	s_add_u32 s20, s57, s20                                    // 000000010790: 80141439
	s_addc_u32 s21, 0, s21                                     // 000000010794: 82151580
	s_add_u32 s28, s3, s28                                     // 000000010798: 801C1C03
	s_addc_u32 s29, 0, s29                                     // 00000001079C: 821D1D80
	v_mfma_f32_16x16x32_fp8_fp8 v[12:15], a[170:171], a[122:123], v[12:15]// 0000000107A0: D3F3000C 1C32F5AA
	s_add_u32 s84, s83, s84                                    // 0000000107A8: 80545453
	s_addc_u32 s85, 0, s85                                     // 0000000107AC: 82555580
	v_mfma_f32_16x16x32_fp8_fp8 v[12:15], a[172:173], a[124:125], v[12:15]// 0000000107B0: D3F3000C 1C32F9AC
	s_add_u32 s32, s4, s32                                     // 0000000107B8: 80202004
	s_addc_u32 s33, 0, s33                                     // 0000000107BC: 82212180
	v_mfma_f32_16x16x32_fp8_fp8 v[12:15], a[174:175], a[126:127], v[12:15]// 0000000107C0: D3F3000C 1C32FDAE
	v_fma_f32 v172, v8, v6, v172                               // 0000000107C8: D1CB00AC 06B20D08
	v_fma_f32 v173, v9, v6, v173                               // 0000000107D0: D1CB00AD 06B60D09
	v_fma_f32 v174, v10, v6, v174                              // 0000000107D8: D1CB00AE 06BA0D0A
	v_fma_f32 v175, v11, v6, v175                              // 0000000107E0: D1CB00AF 06BE0D0B
	v_fma_f32 v204, v12, v6, v204                              // 0000000107E8: D1CB00CC 07320D0C
	v_fma_f32 v205, v13, v6, v205                              // 0000000107F0: D1CB00CD 07360D0D
	v_fma_f32 v206, v14, v6, v206                              // 0000000107F8: D1CB00CE 073A0D0E
	v_fma_f32 v207, v15, v6, v207                              // 000000010800: D1CB00CF 073E0D0F
	s_addk_i32 s80, 0x80                                       // 000000010808: B7500080
	s_cmp_lt_i32 s80, s81                                      // 00000001080C: BF045150
	s_cbranch_scc0 label_3789                                  // 000000010810: BF840001
	s_branch label_2702                                        // 000000010814: BF82EF79

0000000000010818 <label_3789>:
	s_cmp_eq_u32 s88, 0                                        // 000000010818: BF068058
	s_cbranch_scc0 label_423E                                  // 00000001081C: BF840AB3
	s_cmp_eq_u32 s89, 0                                        // 000000010820: BF068059
	s_cbranch_scc1 label_3A12                                  // 000000010824: BF850285
	v_mov_b32_e32 v8, v1                                       // 000000010828: 7E100301
	v_mov_b32_e32 v9, v1                                       // 00000001082C: 7E120301
	s_mov_b32 s60, s6                                          // 000000010830: BEBC0006
	s_mov_b32 s61, s6                                          // 000000010834: BEBD0006
	v_pk_mul_f32 v[4:5], v[80:81], v[80:81]                    // 000000010838: D3B14004 1802A150
	v_pk_mul_f32 v[6:7], v[82:83], v[82:83]                    // 000000010840: D3B14006 1802A552
	v_pk_fma_f32 v[4:5], v[4:5], s[78:79], v[8:9]              // 000000010848: D3B04004 1C209D04
	v_pk_fma_f32 v[6:7], v[6:7], s[78:79], v[8:9]              // 000000010850: D3B04006 1C209D06
	v_pk_mul_f32 v[4:5], v[4:5], v[80:81]                      // 000000010858: D3B14004 1802A104
	v_pk_mul_f32 v[6:7], v[6:7], v[82:83]                      // 000000010860: D3B14006 1802A506
	v_pk_mul_f32 v[4:5], v[4:5], s[60:61]                      // 000000010868: D3B14004 18007904
	v_pk_mul_f32 v[6:7], v[6:7], s[60:61]                      // 000000010870: D3B14006 18007906
	v_exp_f32_e32 v4, v4                                       // 000000010878: 7E084104
	v_exp_f32_e32 v5, v5                                       // 00000001087C: 7E0A4105
	v_exp_f32_e32 v6, v6                                       // 000000010880: 7E0C4106
	v_exp_f32_e32 v7, v7                                       // 000000010884: 7E0E4107
	v_add_f32_e64 v4, v4, 1.0                                  // 000000010888: D1010004 0001E504
	v_add_f32_e64 v5, v5, 1.0                                  // 000000010890: D1010005 0001E505
	v_add_f32_e64 v6, v6, 1.0                                  // 000000010898: D1010006 0001E506
	v_add_f32_e64 v7, v7, 1.0                                  // 0000000108A0: D1010007 0001E507
	v_rcp_f32_e32 v4, v4                                       // 0000000108A8: 7E084504
	v_rcp_f32_e32 v5, v5                                       // 0000000108AC: 7E0A4505
	v_rcp_f32_e32 v6, v6                                       // 0000000108B0: 7E0C4506
	v_rcp_f32_e32 v7, v7                                       // 0000000108B4: 7E0E4507
	v_mul_f32_e32 v80, v80, v4                                 // 0000000108B8: 0AA00950
	v_mul_f32_e32 v81, v81, v5                                 // 0000000108BC: 0AA20B51
	v_mul_f32_e32 v82, v82, v6                                 // 0000000108C0: 0AA40D52
	v_mul_f32_e32 v83, v83, v7                                 // 0000000108C4: 0AA60F53
	v_mul_f32_e32 v80, v80, v144                               // 0000000108C8: 0AA12150
	v_mul_f32_e32 v81, v81, v145                               // 0000000108CC: 0AA32351
	v_mul_f32_e32 v82, v82, v146                               // 0000000108D0: 0AA52552
	v_mul_f32_e32 v83, v83, v147                               // 0000000108D4: 0AA72753
	v_pk_mul_f32 v[4:5], v[84:85], v[84:85]                    // 0000000108D8: D3B14004 1802A954
	v_pk_mul_f32 v[6:7], v[86:87], v[86:87]                    // 0000000108E0: D3B14006 1802AD56
	v_pk_fma_f32 v[4:5], v[4:5], s[78:79], v[8:9]              // 0000000108E8: D3B04004 1C209D04
	v_pk_fma_f32 v[6:7], v[6:7], s[78:79], v[8:9]              // 0000000108F0: D3B04006 1C209D06
	v_pk_mul_f32 v[4:5], v[4:5], v[84:85]                      // 0000000108F8: D3B14004 1802A904
	v_pk_mul_f32 v[6:7], v[6:7], v[86:87]                      // 000000010900: D3B14006 1802AD06
	v_pk_mul_f32 v[4:5], v[4:5], s[60:61]                      // 000000010908: D3B14004 18007904
	v_pk_mul_f32 v[6:7], v[6:7], s[60:61]                      // 000000010910: D3B14006 18007906
	v_exp_f32_e32 v4, v4                                       // 000000010918: 7E084104
	v_exp_f32_e32 v5, v5                                       // 00000001091C: 7E0A4105
	v_exp_f32_e32 v6, v6                                       // 000000010920: 7E0C4106
	v_exp_f32_e32 v7, v7                                       // 000000010924: 7E0E4107
	v_add_f32_e64 v4, v4, 1.0                                  // 000000010928: D1010004 0001E504
	v_add_f32_e64 v5, v5, 1.0                                  // 000000010930: D1010005 0001E505
	v_add_f32_e64 v6, v6, 1.0                                  // 000000010938: D1010006 0001E506
	v_add_f32_e64 v7, v7, 1.0                                  // 000000010940: D1010007 0001E507
	v_rcp_f32_e32 v4, v4                                       // 000000010948: 7E084504
	v_rcp_f32_e32 v5, v5                                       // 00000001094C: 7E0A4505
	v_rcp_f32_e32 v6, v6                                       // 000000010950: 7E0C4506
	v_rcp_f32_e32 v7, v7                                       // 000000010954: 7E0E4507
	v_mul_f32_e32 v84, v84, v4                                 // 000000010958: 0AA80954
	v_mul_f32_e32 v85, v85, v5                                 // 00000001095C: 0AAA0B55
	v_mul_f32_e32 v86, v86, v6                                 // 000000010960: 0AAC0D56
	v_mul_f32_e32 v87, v87, v7                                 // 000000010964: 0AAE0F57
	v_mul_f32_e32 v84, v84, v148                               // 000000010968: 0AA92954
	v_mul_f32_e32 v85, v85, v149                               // 00000001096C: 0AAB2B55
	v_mul_f32_e32 v86, v86, v150                               // 000000010970: 0AAD2D56
	v_mul_f32_e32 v87, v87, v151                               // 000000010974: 0AAF2F57
	v_pk_mul_f32 v[4:5], v[88:89], v[88:89]                    // 000000010978: D3B14004 1802B158
	v_pk_mul_f32 v[6:7], v[90:91], v[90:91]                    // 000000010980: D3B14006 1802B55A
	v_pk_fma_f32 v[4:5], v[4:5], s[78:79], v[8:9]              // 000000010988: D3B04004 1C209D04
	v_pk_fma_f32 v[6:7], v[6:7], s[78:79], v[8:9]              // 000000010990: D3B04006 1C209D06
	v_pk_mul_f32 v[4:5], v[4:5], v[88:89]                      // 000000010998: D3B14004 1802B104
	v_pk_mul_f32 v[6:7], v[6:7], v[90:91]                      // 0000000109A0: D3B14006 1802B506
	v_pk_mul_f32 v[4:5], v[4:5], s[60:61]                      // 0000000109A8: D3B14004 18007904
	v_pk_mul_f32 v[6:7], v[6:7], s[60:61]                      // 0000000109B0: D3B14006 18007906
	v_exp_f32_e32 v4, v4                                       // 0000000109B8: 7E084104
	v_exp_f32_e32 v5, v5                                       // 0000000109BC: 7E0A4105
	v_exp_f32_e32 v6, v6                                       // 0000000109C0: 7E0C4106
	v_exp_f32_e32 v7, v7                                       // 0000000109C4: 7E0E4107
	v_add_f32_e64 v4, v4, 1.0                                  // 0000000109C8: D1010004 0001E504
	v_add_f32_e64 v5, v5, 1.0                                  // 0000000109D0: D1010005 0001E505
	v_add_f32_e64 v6, v6, 1.0                                  // 0000000109D8: D1010006 0001E506
	v_add_f32_e64 v7, v7, 1.0                                  // 0000000109E0: D1010007 0001E507
	v_rcp_f32_e32 v4, v4                                       // 0000000109E8: 7E084504
	v_rcp_f32_e32 v5, v5                                       // 0000000109EC: 7E0A4505
	v_rcp_f32_e32 v6, v6                                       // 0000000109F0: 7E0C4506
	v_rcp_f32_e32 v7, v7                                       // 0000000109F4: 7E0E4507
	v_mul_f32_e32 v88, v88, v4                                 // 0000000109F8: 0AB00958
	v_mul_f32_e32 v89, v89, v5                                 // 0000000109FC: 0AB20B59
	v_mul_f32_e32 v90, v90, v6                                 // 000000010A00: 0AB40D5A
	v_mul_f32_e32 v91, v91, v7                                 // 000000010A04: 0AB60F5B
	v_mul_f32_e32 v88, v88, v152                               // 000000010A08: 0AB13158
	v_mul_f32_e32 v89, v89, v153                               // 000000010A0C: 0AB33359
	v_mul_f32_e32 v90, v90, v154                               // 000000010A10: 0AB5355A
	v_mul_f32_e32 v91, v91, v155                               // 000000010A14: 0AB7375B
	v_pk_mul_f32 v[4:5], v[92:93], v[92:93]                    // 000000010A18: D3B14004 1802B95C
	v_pk_mul_f32 v[6:7], v[94:95], v[94:95]                    // 000000010A20: D3B14006 1802BD5E
	v_pk_fma_f32 v[4:5], v[4:5], s[78:79], v[8:9]              // 000000010A28: D3B04004 1C209D04
	v_pk_fma_f32 v[6:7], v[6:7], s[78:79], v[8:9]              // 000000010A30: D3B04006 1C209D06
	v_pk_mul_f32 v[4:5], v[4:5], v[92:93]                      // 000000010A38: D3B14004 1802B904
	v_pk_mul_f32 v[6:7], v[6:7], v[94:95]                      // 000000010A40: D3B14006 1802BD06
	v_pk_mul_f32 v[4:5], v[4:5], s[60:61]                      // 000000010A48: D3B14004 18007904
	v_pk_mul_f32 v[6:7], v[6:7], s[60:61]                      // 000000010A50: D3B14006 18007906
	v_exp_f32_e32 v4, v4                                       // 000000010A58: 7E084104
	v_exp_f32_e32 v5, v5                                       // 000000010A5C: 7E0A4105
	v_exp_f32_e32 v6, v6                                       // 000000010A60: 7E0C4106
	v_exp_f32_e32 v7, v7                                       // 000000010A64: 7E0E4107
	v_add_f32_e64 v4, v4, 1.0                                  // 000000010A68: D1010004 0001E504
	v_add_f32_e64 v5, v5, 1.0                                  // 000000010A70: D1010005 0001E505
	v_add_f32_e64 v6, v6, 1.0                                  // 000000010A78: D1010006 0001E506
	v_add_f32_e64 v7, v7, 1.0                                  // 000000010A80: D1010007 0001E507
	v_rcp_f32_e32 v4, v4                                       // 000000010A88: 7E084504
	v_rcp_f32_e32 v5, v5                                       // 000000010A8C: 7E0A4505
	v_rcp_f32_e32 v6, v6                                       // 000000010A90: 7E0C4506
	v_rcp_f32_e32 v7, v7                                       // 000000010A94: 7E0E4507
	v_mul_f32_e32 v92, v92, v4                                 // 000000010A98: 0AB8095C
	v_mul_f32_e32 v93, v93, v5                                 // 000000010A9C: 0ABA0B5D
	v_mul_f32_e32 v94, v94, v6                                 // 000000010AA0: 0ABC0D5E
	v_mul_f32_e32 v95, v95, v7                                 // 000000010AA4: 0ABE0F5F
	v_mul_f32_e32 v92, v92, v156                               // 000000010AA8: 0AB9395C
	v_mul_f32_e32 v93, v93, v157                               // 000000010AAC: 0ABB3B5D
	v_mul_f32_e32 v94, v94, v158                               // 000000010AB0: 0ABD3D5E
	v_mul_f32_e32 v95, v95, v159                               // 000000010AB4: 0ABF3F5F
	v_pk_mul_f32 v[4:5], v[96:97], v[96:97]                    // 000000010AB8: D3B14004 1802C160
	v_pk_mul_f32 v[6:7], v[98:99], v[98:99]                    // 000000010AC0: D3B14006 1802C562
	v_pk_fma_f32 v[4:5], v[4:5], s[78:79], v[8:9]              // 000000010AC8: D3B04004 1C209D04
	v_pk_fma_f32 v[6:7], v[6:7], s[78:79], v[8:9]              // 000000010AD0: D3B04006 1C209D06
	v_pk_mul_f32 v[4:5], v[4:5], v[96:97]                      // 000000010AD8: D3B14004 1802C104
	v_pk_mul_f32 v[6:7], v[6:7], v[98:99]                      // 000000010AE0: D3B14006 1802C506
	v_pk_mul_f32 v[4:5], v[4:5], s[60:61]                      // 000000010AE8: D3B14004 18007904
	v_pk_mul_f32 v[6:7], v[6:7], s[60:61]                      // 000000010AF0: D3B14006 18007906
	v_exp_f32_e32 v4, v4                                       // 000000010AF8: 7E084104
	v_exp_f32_e32 v5, v5                                       // 000000010AFC: 7E0A4105
	v_exp_f32_e32 v6, v6                                       // 000000010B00: 7E0C4106
	v_exp_f32_e32 v7, v7                                       // 000000010B04: 7E0E4107
	v_add_f32_e64 v4, v4, 1.0                                  // 000000010B08: D1010004 0001E504
	v_add_f32_e64 v5, v5, 1.0                                  // 000000010B10: D1010005 0001E505
	v_add_f32_e64 v6, v6, 1.0                                  // 000000010B18: D1010006 0001E506
	v_add_f32_e64 v7, v7, 1.0                                  // 000000010B20: D1010007 0001E507
	v_rcp_f32_e32 v4, v4                                       // 000000010B28: 7E084504
	v_rcp_f32_e32 v5, v5                                       // 000000010B2C: 7E0A4505
	v_rcp_f32_e32 v6, v6                                       // 000000010B30: 7E0C4506
	v_rcp_f32_e32 v7, v7                                       // 000000010B34: 7E0E4507
	v_mul_f32_e32 v96, v96, v4                                 // 000000010B38: 0AC00960
	v_mul_f32_e32 v97, v97, v5                                 // 000000010B3C: 0AC20B61
	v_mul_f32_e32 v98, v98, v6                                 // 000000010B40: 0AC40D62
	v_mul_f32_e32 v99, v99, v7                                 // 000000010B44: 0AC60F63
	v_mul_f32_e32 v96, v96, v160                               // 000000010B48: 0AC14160
	v_mul_f32_e32 v97, v97, v161                               // 000000010B4C: 0AC34361
	v_mul_f32_e32 v98, v98, v162                               // 000000010B50: 0AC54562
	v_mul_f32_e32 v99, v99, v163                               // 000000010B54: 0AC74763
	v_pk_mul_f32 v[4:5], v[100:101], v[100:101]                // 000000010B58: D3B14004 1802C964
	v_pk_mul_f32 v[6:7], v[102:103], v[102:103]                // 000000010B60: D3B14006 1802CD66
	v_pk_fma_f32 v[4:5], v[4:5], s[78:79], v[8:9]              // 000000010B68: D3B04004 1C209D04
	v_pk_fma_f32 v[6:7], v[6:7], s[78:79], v[8:9]              // 000000010B70: D3B04006 1C209D06
	v_pk_mul_f32 v[4:5], v[4:5], v[100:101]                    // 000000010B78: D3B14004 1802C904
	v_pk_mul_f32 v[6:7], v[6:7], v[102:103]                    // 000000010B80: D3B14006 1802CD06
	v_pk_mul_f32 v[4:5], v[4:5], s[60:61]                      // 000000010B88: D3B14004 18007904
	v_pk_mul_f32 v[6:7], v[6:7], s[60:61]                      // 000000010B90: D3B14006 18007906
	v_exp_f32_e32 v4, v4                                       // 000000010B98: 7E084104
	v_exp_f32_e32 v5, v5                                       // 000000010B9C: 7E0A4105
	v_exp_f32_e32 v6, v6                                       // 000000010BA0: 7E0C4106
	v_exp_f32_e32 v7, v7                                       // 000000010BA4: 7E0E4107
	v_add_f32_e64 v4, v4, 1.0                                  // 000000010BA8: D1010004 0001E504
	v_add_f32_e64 v5, v5, 1.0                                  // 000000010BB0: D1010005 0001E505
	v_add_f32_e64 v6, v6, 1.0                                  // 000000010BB8: D1010006 0001E506
	v_add_f32_e64 v7, v7, 1.0                                  // 000000010BC0: D1010007 0001E507
	v_rcp_f32_e32 v4, v4                                       // 000000010BC8: 7E084504
	v_rcp_f32_e32 v5, v5                                       // 000000010BCC: 7E0A4505
	v_rcp_f32_e32 v6, v6                                       // 000000010BD0: 7E0C4506
	v_rcp_f32_e32 v7, v7                                       // 000000010BD4: 7E0E4507
	v_mul_f32_e32 v100, v100, v4                               // 000000010BD8: 0AC80964
	v_mul_f32_e32 v101, v101, v5                               // 000000010BDC: 0ACA0B65
	v_mul_f32_e32 v102, v102, v6                               // 000000010BE0: 0ACC0D66
	v_mul_f32_e32 v103, v103, v7                               // 000000010BE4: 0ACE0F67
	v_mul_f32_e32 v100, v100, v164                             // 000000010BE8: 0AC94964
	v_mul_f32_e32 v101, v101, v165                             // 000000010BEC: 0ACB4B65
	v_mul_f32_e32 v102, v102, v166                             // 000000010BF0: 0ACD4D66
	v_mul_f32_e32 v103, v103, v167                             // 000000010BF4: 0ACF4F67
	v_pk_mul_f32 v[4:5], v[104:105], v[104:105]                // 000000010BF8: D3B14004 1802D168
	v_pk_mul_f32 v[6:7], v[106:107], v[106:107]                // 000000010C00: D3B14006 1802D56A
	v_pk_fma_f32 v[4:5], v[4:5], s[78:79], v[8:9]              // 000000010C08: D3B04004 1C209D04
	v_pk_fma_f32 v[6:7], v[6:7], s[78:79], v[8:9]              // 000000010C10: D3B04006 1C209D06
	v_pk_mul_f32 v[4:5], v[4:5], v[104:105]                    // 000000010C18: D3B14004 1802D104
	v_pk_mul_f32 v[6:7], v[6:7], v[106:107]                    // 000000010C20: D3B14006 1802D506
	v_pk_mul_f32 v[4:5], v[4:5], s[60:61]                      // 000000010C28: D3B14004 18007904
	v_pk_mul_f32 v[6:7], v[6:7], s[60:61]                      // 000000010C30: D3B14006 18007906
	v_exp_f32_e32 v4, v4                                       // 000000010C38: 7E084104
	v_exp_f32_e32 v5, v5                                       // 000000010C3C: 7E0A4105
	v_exp_f32_e32 v6, v6                                       // 000000010C40: 7E0C4106
	v_exp_f32_e32 v7, v7                                       // 000000010C44: 7E0E4107
	v_add_f32_e64 v4, v4, 1.0                                  // 000000010C48: D1010004 0001E504
	v_add_f32_e64 v5, v5, 1.0                                  // 000000010C50: D1010005 0001E505
	v_add_f32_e64 v6, v6, 1.0                                  // 000000010C58: D1010006 0001E506
	v_add_f32_e64 v7, v7, 1.0                                  // 000000010C60: D1010007 0001E507
	v_rcp_f32_e32 v4, v4                                       // 000000010C68: 7E084504
	v_rcp_f32_e32 v5, v5                                       // 000000010C6C: 7E0A4505
	v_rcp_f32_e32 v6, v6                                       // 000000010C70: 7E0C4506
	v_rcp_f32_e32 v7, v7                                       // 000000010C74: 7E0E4507
	v_mul_f32_e32 v104, v104, v4                               // 000000010C78: 0AD00968
	v_mul_f32_e32 v105, v105, v5                               // 000000010C7C: 0AD20B69
	v_mul_f32_e32 v106, v106, v6                               // 000000010C80: 0AD40D6A
	v_mul_f32_e32 v107, v107, v7                               // 000000010C84: 0AD60F6B
	v_mul_f32_e32 v104, v104, v168                             // 000000010C88: 0AD15168
	v_mul_f32_e32 v105, v105, v169                             // 000000010C8C: 0AD35369
	v_mul_f32_e32 v106, v106, v170                             // 000000010C90: 0AD5556A
	v_mul_f32_e32 v107, v107, v171                             // 000000010C94: 0AD7576B
	v_pk_mul_f32 v[4:5], v[108:109], v[108:109]                // 000000010C98: D3B14004 1802D96C
	v_pk_mul_f32 v[6:7], v[110:111], v[110:111]                // 000000010CA0: D3B14006 1802DD6E
	v_pk_fma_f32 v[4:5], v[4:5], s[78:79], v[8:9]              // 000000010CA8: D3B04004 1C209D04
	v_pk_fma_f32 v[6:7], v[6:7], s[78:79], v[8:9]              // 000000010CB0: D3B04006 1C209D06
	v_pk_mul_f32 v[4:5], v[4:5], v[108:109]                    // 000000010CB8: D3B14004 1802D904
	v_pk_mul_f32 v[6:7], v[6:7], v[110:111]                    // 000000010CC0: D3B14006 1802DD06
	v_pk_mul_f32 v[4:5], v[4:5], s[60:61]                      // 000000010CC8: D3B14004 18007904
	v_pk_mul_f32 v[6:7], v[6:7], s[60:61]                      // 000000010CD0: D3B14006 18007906
	v_exp_f32_e32 v4, v4                                       // 000000010CD8: 7E084104
	v_exp_f32_e32 v5, v5                                       // 000000010CDC: 7E0A4105
	v_exp_f32_e32 v6, v6                                       // 000000010CE0: 7E0C4106
	v_exp_f32_e32 v7, v7                                       // 000000010CE4: 7E0E4107
	v_add_f32_e64 v4, v4, 1.0                                  // 000000010CE8: D1010004 0001E504
	v_add_f32_e64 v5, v5, 1.0                                  // 000000010CF0: D1010005 0001E505
	v_add_f32_e64 v6, v6, 1.0                                  // 000000010CF8: D1010006 0001E506
	v_add_f32_e64 v7, v7, 1.0                                  // 000000010D00: D1010007 0001E507
	v_rcp_f32_e32 v4, v4                                       // 000000010D08: 7E084504
	v_rcp_f32_e32 v5, v5                                       // 000000010D0C: 7E0A4505
	v_rcp_f32_e32 v6, v6                                       // 000000010D10: 7E0C4506
	v_rcp_f32_e32 v7, v7                                       // 000000010D14: 7E0E4507
	v_mul_f32_e32 v108, v108, v4                               // 000000010D18: 0AD8096C
	v_mul_f32_e32 v109, v109, v5                               // 000000010D1C: 0ADA0B6D
	v_mul_f32_e32 v110, v110, v6                               // 000000010D20: 0ADC0D6E
	v_mul_f32_e32 v111, v111, v7                               // 000000010D24: 0ADE0F6F
	v_mul_f32_e32 v108, v108, v172                             // 000000010D28: 0AD9596C
	v_mul_f32_e32 v109, v109, v173                             // 000000010D2C: 0ADB5B6D
	v_mul_f32_e32 v110, v110, v174                             // 000000010D30: 0ADD5D6E
	v_mul_f32_e32 v111, v111, v175                             // 000000010D34: 0ADF5F6F
	v_pk_mul_f32 v[4:5], v[112:113], v[112:113]                // 000000010D38: D3B14004 1802E170
	v_pk_mul_f32 v[6:7], v[114:115], v[114:115]                // 000000010D40: D3B14006 1802E572
	v_pk_fma_f32 v[4:5], v[4:5], s[78:79], v[8:9]              // 000000010D48: D3B04004 1C209D04
	v_pk_fma_f32 v[6:7], v[6:7], s[78:79], v[8:9]              // 000000010D50: D3B04006 1C209D06
	v_pk_mul_f32 v[4:5], v[4:5], v[112:113]                    // 000000010D58: D3B14004 1802E104
	v_pk_mul_f32 v[6:7], v[6:7], v[114:115]                    // 000000010D60: D3B14006 1802E506
	v_pk_mul_f32 v[4:5], v[4:5], s[60:61]                      // 000000010D68: D3B14004 18007904
	v_pk_mul_f32 v[6:7], v[6:7], s[60:61]                      // 000000010D70: D3B14006 18007906
	v_exp_f32_e32 v4, v4                                       // 000000010D78: 7E084104
	v_exp_f32_e32 v5, v5                                       // 000000010D7C: 7E0A4105
	v_exp_f32_e32 v6, v6                                       // 000000010D80: 7E0C4106
	v_exp_f32_e32 v7, v7                                       // 000000010D84: 7E0E4107
	v_add_f32_e64 v4, v4, 1.0                                  // 000000010D88: D1010004 0001E504
	v_add_f32_e64 v5, v5, 1.0                                  // 000000010D90: D1010005 0001E505
	v_add_f32_e64 v6, v6, 1.0                                  // 000000010D98: D1010006 0001E506
	v_add_f32_e64 v7, v7, 1.0                                  // 000000010DA0: D1010007 0001E507
	v_rcp_f32_e32 v4, v4                                       // 000000010DA8: 7E084504
	v_rcp_f32_e32 v5, v5                                       // 000000010DAC: 7E0A4505
	v_rcp_f32_e32 v6, v6                                       // 000000010DB0: 7E0C4506
	v_rcp_f32_e32 v7, v7                                       // 000000010DB4: 7E0E4507
	v_mul_f32_e32 v112, v112, v4                               // 000000010DB8: 0AE00970
	v_mul_f32_e32 v113, v113, v5                               // 000000010DBC: 0AE20B71
	v_mul_f32_e32 v114, v114, v6                               // 000000010DC0: 0AE40D72
	v_mul_f32_e32 v115, v115, v7                               // 000000010DC4: 0AE60F73
	v_mul_f32_e32 v112, v112, v176                             // 000000010DC8: 0AE16170
	v_mul_f32_e32 v113, v113, v177                             // 000000010DCC: 0AE36371
	v_mul_f32_e32 v114, v114, v178                             // 000000010DD0: 0AE56572
	v_mul_f32_e32 v115, v115, v179                             // 000000010DD4: 0AE76773
	v_pk_mul_f32 v[4:5], v[116:117], v[116:117]                // 000000010DD8: D3B14004 1802E974
	v_pk_mul_f32 v[6:7], v[118:119], v[118:119]                // 000000010DE0: D3B14006 1802ED76
	v_pk_fma_f32 v[4:5], v[4:5], s[78:79], v[8:9]              // 000000010DE8: D3B04004 1C209D04
	v_pk_fma_f32 v[6:7], v[6:7], s[78:79], v[8:9]              // 000000010DF0: D3B04006 1C209D06
	v_pk_mul_f32 v[4:5], v[4:5], v[116:117]                    // 000000010DF8: D3B14004 1802E904
	v_pk_mul_f32 v[6:7], v[6:7], v[118:119]                    // 000000010E00: D3B14006 1802ED06
	v_pk_mul_f32 v[4:5], v[4:5], s[60:61]                      // 000000010E08: D3B14004 18007904
	v_pk_mul_f32 v[6:7], v[6:7], s[60:61]                      // 000000010E10: D3B14006 18007906
	v_exp_f32_e32 v4, v4                                       // 000000010E18: 7E084104
	v_exp_f32_e32 v5, v5                                       // 000000010E1C: 7E0A4105
	v_exp_f32_e32 v6, v6                                       // 000000010E20: 7E0C4106
	v_exp_f32_e32 v7, v7                                       // 000000010E24: 7E0E4107
	v_add_f32_e64 v4, v4, 1.0                                  // 000000010E28: D1010004 0001E504
	v_add_f32_e64 v5, v5, 1.0                                  // 000000010E30: D1010005 0001E505
	v_add_f32_e64 v6, v6, 1.0                                  // 000000010E38: D1010006 0001E506
	v_add_f32_e64 v7, v7, 1.0                                  // 000000010E40: D1010007 0001E507
	v_rcp_f32_e32 v4, v4                                       // 000000010E48: 7E084504
	v_rcp_f32_e32 v5, v5                                       // 000000010E4C: 7E0A4505
	v_rcp_f32_e32 v6, v6                                       // 000000010E50: 7E0C4506
	v_rcp_f32_e32 v7, v7                                       // 000000010E54: 7E0E4507
	v_mul_f32_e32 v116, v116, v4                               // 000000010E58: 0AE80974
	v_mul_f32_e32 v117, v117, v5                               // 000000010E5C: 0AEA0B75
	v_mul_f32_e32 v118, v118, v6                               // 000000010E60: 0AEC0D76
	v_mul_f32_e32 v119, v119, v7                               // 000000010E64: 0AEE0F77
	v_mul_f32_e32 v116, v116, v180                             // 000000010E68: 0AE96974
	v_mul_f32_e32 v117, v117, v181                             // 000000010E6C: 0AEB6B75
	v_mul_f32_e32 v118, v118, v182                             // 000000010E70: 0AED6D76
	v_mul_f32_e32 v119, v119, v183                             // 000000010E74: 0AEF6F77
	v_pk_mul_f32 v[4:5], v[120:121], v[120:121]                // 000000010E78: D3B14004 1802F178
	v_pk_mul_f32 v[6:7], v[122:123], v[122:123]                // 000000010E80: D3B14006 1802F57A
	v_pk_fma_f32 v[4:5], v[4:5], s[78:79], v[8:9]              // 000000010E88: D3B04004 1C209D04
	v_pk_fma_f32 v[6:7], v[6:7], s[78:79], v[8:9]              // 000000010E90: D3B04006 1C209D06
	v_pk_mul_f32 v[4:5], v[4:5], v[120:121]                    // 000000010E98: D3B14004 1802F104
	v_pk_mul_f32 v[6:7], v[6:7], v[122:123]                    // 000000010EA0: D3B14006 1802F506
	v_pk_mul_f32 v[4:5], v[4:5], s[60:61]                      // 000000010EA8: D3B14004 18007904
	v_pk_mul_f32 v[6:7], v[6:7], s[60:61]                      // 000000010EB0: D3B14006 18007906
	v_exp_f32_e32 v4, v4                                       // 000000010EB8: 7E084104
	v_exp_f32_e32 v5, v5                                       // 000000010EBC: 7E0A4105
	v_exp_f32_e32 v6, v6                                       // 000000010EC0: 7E0C4106
	v_exp_f32_e32 v7, v7                                       // 000000010EC4: 7E0E4107
	v_add_f32_e64 v4, v4, 1.0                                  // 000000010EC8: D1010004 0001E504
	v_add_f32_e64 v5, v5, 1.0                                  // 000000010ED0: D1010005 0001E505
	v_add_f32_e64 v6, v6, 1.0                                  // 000000010ED8: D1010006 0001E506
	v_add_f32_e64 v7, v7, 1.0                                  // 000000010EE0: D1010007 0001E507
	v_rcp_f32_e32 v4, v4                                       // 000000010EE8: 7E084504
	v_rcp_f32_e32 v5, v5                                       // 000000010EEC: 7E0A4505
	v_rcp_f32_e32 v6, v6                                       // 000000010EF0: 7E0C4506
	v_rcp_f32_e32 v7, v7                                       // 000000010EF4: 7E0E4507
	v_mul_f32_e32 v120, v120, v4                               // 000000010EF8: 0AF00978
	v_mul_f32_e32 v121, v121, v5                               // 000000010EFC: 0AF20B79
	v_mul_f32_e32 v122, v122, v6                               // 000000010F00: 0AF40D7A
	v_mul_f32_e32 v123, v123, v7                               // 000000010F04: 0AF60F7B
	v_mul_f32_e32 v120, v120, v184                             // 000000010F08: 0AF17178
	v_mul_f32_e32 v121, v121, v185                             // 000000010F0C: 0AF37379
	v_mul_f32_e32 v122, v122, v186                             // 000000010F10: 0AF5757A
	v_mul_f32_e32 v123, v123, v187                             // 000000010F14: 0AF7777B
	v_pk_mul_f32 v[4:5], v[124:125], v[124:125]                // 000000010F18: D3B14004 1802F97C
	v_pk_mul_f32 v[6:7], v[126:127], v[126:127]                // 000000010F20: D3B14006 1802FD7E
	v_pk_fma_f32 v[4:5], v[4:5], s[78:79], v[8:9]              // 000000010F28: D3B04004 1C209D04
	v_pk_fma_f32 v[6:7], v[6:7], s[78:79], v[8:9]              // 000000010F30: D3B04006 1C209D06
	v_pk_mul_f32 v[4:5], v[4:5], v[124:125]                    // 000000010F38: D3B14004 1802F904
	v_pk_mul_f32 v[6:7], v[6:7], v[126:127]                    // 000000010F40: D3B14006 1802FD06
	v_pk_mul_f32 v[4:5], v[4:5], s[60:61]                      // 000000010F48: D3B14004 18007904
	v_pk_mul_f32 v[6:7], v[6:7], s[60:61]                      // 000000010F50: D3B14006 18007906
	v_exp_f32_e32 v4, v4                                       // 000000010F58: 7E084104
	v_exp_f32_e32 v5, v5                                       // 000000010F5C: 7E0A4105
	v_exp_f32_e32 v6, v6                                       // 000000010F60: 7E0C4106
	v_exp_f32_e32 v7, v7                                       // 000000010F64: 7E0E4107
	v_add_f32_e64 v4, v4, 1.0                                  // 000000010F68: D1010004 0001E504
	v_add_f32_e64 v5, v5, 1.0                                  // 000000010F70: D1010005 0001E505
	v_add_f32_e64 v6, v6, 1.0                                  // 000000010F78: D1010006 0001E506
	v_add_f32_e64 v7, v7, 1.0                                  // 000000010F80: D1010007 0001E507
	v_rcp_f32_e32 v4, v4                                       // 000000010F88: 7E084504
	v_rcp_f32_e32 v5, v5                                       // 000000010F8C: 7E0A4505
	v_rcp_f32_e32 v6, v6                                       // 000000010F90: 7E0C4506
	v_rcp_f32_e32 v7, v7                                       // 000000010F94: 7E0E4507
	v_mul_f32_e32 v124, v124, v4                               // 000000010F98: 0AF8097C
	v_mul_f32_e32 v125, v125, v5                               // 000000010F9C: 0AFA0B7D
	v_mul_f32_e32 v126, v126, v6                               // 000000010FA0: 0AFC0D7E
	v_mul_f32_e32 v127, v127, v7                               // 000000010FA4: 0AFE0F7F
	v_mul_f32_e32 v124, v124, v188                             // 000000010FA8: 0AF9797C
	v_mul_f32_e32 v125, v125, v189                             // 000000010FAC: 0AFB7B7D
	v_mul_f32_e32 v126, v126, v190                             // 000000010FB0: 0AFD7D7E
	v_mul_f32_e32 v127, v127, v191                             // 000000010FB4: 0AFF7F7F
	v_pk_mul_f32 v[4:5], v[128:129], v[128:129]                // 000000010FB8: D3B14004 18030180
	v_pk_mul_f32 v[6:7], v[130:131], v[130:131]                // 000000010FC0: D3B14006 18030582
	v_pk_fma_f32 v[4:5], v[4:5], s[78:79], v[8:9]              // 000000010FC8: D3B04004 1C209D04
	v_pk_fma_f32 v[6:7], v[6:7], s[78:79], v[8:9]              // 000000010FD0: D3B04006 1C209D06
	v_pk_mul_f32 v[4:5], v[4:5], v[128:129]                    // 000000010FD8: D3B14004 18030104
	v_pk_mul_f32 v[6:7], v[6:7], v[130:131]                    // 000000010FE0: D3B14006 18030506
	v_pk_mul_f32 v[4:5], v[4:5], s[60:61]                      // 000000010FE8: D3B14004 18007904
	v_pk_mul_f32 v[6:7], v[6:7], s[60:61]                      // 000000010FF0: D3B14006 18007906
	v_exp_f32_e32 v4, v4                                       // 000000010FF8: 7E084104
	v_exp_f32_e32 v5, v5                                       // 000000010FFC: 7E0A4105
	v_exp_f32_e32 v6, v6                                       // 000000011000: 7E0C4106
	v_exp_f32_e32 v7, v7                                       // 000000011004: 7E0E4107
	v_add_f32_e64 v4, v4, 1.0                                  // 000000011008: D1010004 0001E504
	v_add_f32_e64 v5, v5, 1.0                                  // 000000011010: D1010005 0001E505
	v_add_f32_e64 v6, v6, 1.0                                  // 000000011018: D1010006 0001E506
	v_add_f32_e64 v7, v7, 1.0                                  // 000000011020: D1010007 0001E507
	v_rcp_f32_e32 v4, v4                                       // 000000011028: 7E084504
	v_rcp_f32_e32 v5, v5                                       // 00000001102C: 7E0A4505
	v_rcp_f32_e32 v6, v6                                       // 000000011030: 7E0C4506
	v_rcp_f32_e32 v7, v7                                       // 000000011034: 7E0E4507
	v_mul_f32_e32 v128, v128, v4                               // 000000011038: 0B000980
	v_mul_f32_e32 v129, v129, v5                               // 00000001103C: 0B020B81
	v_mul_f32_e32 v130, v130, v6                               // 000000011040: 0B040D82
	v_mul_f32_e32 v131, v131, v7                               // 000000011044: 0B060F83
	v_mul_f32_e32 v128, v128, v192                             // 000000011048: 0B018180
	v_mul_f32_e32 v129, v129, v193                             // 00000001104C: 0B038381
	v_mul_f32_e32 v130, v130, v194                             // 000000011050: 0B058582
	v_mul_f32_e32 v131, v131, v195                             // 000000011054: 0B078783
	v_pk_mul_f32 v[4:5], v[132:133], v[132:133]                // 000000011058: D3B14004 18030984
	v_pk_mul_f32 v[6:7], v[134:135], v[134:135]                // 000000011060: D3B14006 18030D86
	v_pk_fma_f32 v[4:5], v[4:5], s[78:79], v[8:9]              // 000000011068: D3B04004 1C209D04
	v_pk_fma_f32 v[6:7], v[6:7], s[78:79], v[8:9]              // 000000011070: D3B04006 1C209D06
	v_pk_mul_f32 v[4:5], v[4:5], v[132:133]                    // 000000011078: D3B14004 18030904
	v_pk_mul_f32 v[6:7], v[6:7], v[134:135]                    // 000000011080: D3B14006 18030D06
	v_pk_mul_f32 v[4:5], v[4:5], s[60:61]                      // 000000011088: D3B14004 18007904
	v_pk_mul_f32 v[6:7], v[6:7], s[60:61]                      // 000000011090: D3B14006 18007906
	v_exp_f32_e32 v4, v4                                       // 000000011098: 7E084104
	v_exp_f32_e32 v5, v5                                       // 00000001109C: 7E0A4105
	v_exp_f32_e32 v6, v6                                       // 0000000110A0: 7E0C4106
	v_exp_f32_e32 v7, v7                                       // 0000000110A4: 7E0E4107
	v_add_f32_e64 v4, v4, 1.0                                  // 0000000110A8: D1010004 0001E504
	v_add_f32_e64 v5, v5, 1.0                                  // 0000000110B0: D1010005 0001E505
	v_add_f32_e64 v6, v6, 1.0                                  // 0000000110B8: D1010006 0001E506
	v_add_f32_e64 v7, v7, 1.0                                  // 0000000110C0: D1010007 0001E507
	v_rcp_f32_e32 v4, v4                                       // 0000000110C8: 7E084504
	v_rcp_f32_e32 v5, v5                                       // 0000000110CC: 7E0A4505
	v_rcp_f32_e32 v6, v6                                       // 0000000110D0: 7E0C4506
	v_rcp_f32_e32 v7, v7                                       // 0000000110D4: 7E0E4507
	v_mul_f32_e32 v132, v132, v4                               // 0000000110D8: 0B080984
	v_mul_f32_e32 v133, v133, v5                               // 0000000110DC: 0B0A0B85
	v_mul_f32_e32 v134, v134, v6                               // 0000000110E0: 0B0C0D86
	v_mul_f32_e32 v135, v135, v7                               // 0000000110E4: 0B0E0F87
	v_mul_f32_e32 v132, v132, v196                             // 0000000110E8: 0B098984
	v_mul_f32_e32 v133, v133, v197                             // 0000000110EC: 0B0B8B85
	v_mul_f32_e32 v134, v134, v198                             // 0000000110F0: 0B0D8D86
	v_mul_f32_e32 v135, v135, v199                             // 0000000110F4: 0B0F8F87
	v_pk_mul_f32 v[4:5], v[136:137], v[136:137]                // 0000000110F8: D3B14004 18031188
	v_pk_mul_f32 v[6:7], v[138:139], v[138:139]                // 000000011100: D3B14006 1803158A
	v_pk_fma_f32 v[4:5], v[4:5], s[78:79], v[8:9]              // 000000011108: D3B04004 1C209D04
	v_pk_fma_f32 v[6:7], v[6:7], s[78:79], v[8:9]              // 000000011110: D3B04006 1C209D06
	v_pk_mul_f32 v[4:5], v[4:5], v[136:137]                    // 000000011118: D3B14004 18031104
	v_pk_mul_f32 v[6:7], v[6:7], v[138:139]                    // 000000011120: D3B14006 18031506
	v_pk_mul_f32 v[4:5], v[4:5], s[60:61]                      // 000000011128: D3B14004 18007904
	v_pk_mul_f32 v[6:7], v[6:7], s[60:61]                      // 000000011130: D3B14006 18007906
	v_exp_f32_e32 v4, v4                                       // 000000011138: 7E084104
	v_exp_f32_e32 v5, v5                                       // 00000001113C: 7E0A4105
	v_exp_f32_e32 v6, v6                                       // 000000011140: 7E0C4106
	v_exp_f32_e32 v7, v7                                       // 000000011144: 7E0E4107
	v_add_f32_e64 v4, v4, 1.0                                  // 000000011148: D1010004 0001E504
	v_add_f32_e64 v5, v5, 1.0                                  // 000000011150: D1010005 0001E505
	v_add_f32_e64 v6, v6, 1.0                                  // 000000011158: D1010006 0001E506
	v_add_f32_e64 v7, v7, 1.0                                  // 000000011160: D1010007 0001E507
	v_rcp_f32_e32 v4, v4                                       // 000000011168: 7E084504
	v_rcp_f32_e32 v5, v5                                       // 00000001116C: 7E0A4505
	v_rcp_f32_e32 v6, v6                                       // 000000011170: 7E0C4506
	v_rcp_f32_e32 v7, v7                                       // 000000011174: 7E0E4507
	v_mul_f32_e32 v136, v136, v4                               // 000000011178: 0B100988
	v_mul_f32_e32 v137, v137, v5                               // 00000001117C: 0B120B89
	v_mul_f32_e32 v138, v138, v6                               // 000000011180: 0B140D8A
	v_mul_f32_e32 v139, v139, v7                               // 000000011184: 0B160F8B
	v_mul_f32_e32 v136, v136, v200                             // 000000011188: 0B119188
	v_mul_f32_e32 v137, v137, v201                             // 00000001118C: 0B139389
	v_mul_f32_e32 v138, v138, v202                             // 000000011190: 0B15958A
	v_mul_f32_e32 v139, v139, v203                             // 000000011194: 0B17978B
	v_pk_mul_f32 v[4:5], v[140:141], v[140:141]                // 000000011198: D3B14004 1803198C
	v_pk_mul_f32 v[6:7], v[142:143], v[142:143]                // 0000000111A0: D3B14006 18031D8E
	v_pk_fma_f32 v[4:5], v[4:5], s[78:79], v[8:9]              // 0000000111A8: D3B04004 1C209D04
	v_pk_fma_f32 v[6:7], v[6:7], s[78:79], v[8:9]              // 0000000111B0: D3B04006 1C209D06
	v_pk_mul_f32 v[4:5], v[4:5], v[140:141]                    // 0000000111B8: D3B14004 18031904
	v_pk_mul_f32 v[6:7], v[6:7], v[142:143]                    // 0000000111C0: D3B14006 18031D06
	v_pk_mul_f32 v[4:5], v[4:5], s[60:61]                      // 0000000111C8: D3B14004 18007904
	v_pk_mul_f32 v[6:7], v[6:7], s[60:61]                      // 0000000111D0: D3B14006 18007906
	v_exp_f32_e32 v4, v4                                       // 0000000111D8: 7E084104
	v_exp_f32_e32 v5, v5                                       // 0000000111DC: 7E0A4105
	v_exp_f32_e32 v6, v6                                       // 0000000111E0: 7E0C4106
	v_exp_f32_e32 v7, v7                                       // 0000000111E4: 7E0E4107
	v_add_f32_e64 v4, v4, 1.0                                  // 0000000111E8: D1010004 0001E504
	v_add_f32_e64 v5, v5, 1.0                                  // 0000000111F0: D1010005 0001E505
	v_add_f32_e64 v6, v6, 1.0                                  // 0000000111F8: D1010006 0001E506
	v_add_f32_e64 v7, v7, 1.0                                  // 000000011200: D1010007 0001E507
	v_rcp_f32_e32 v4, v4                                       // 000000011208: 7E084504
	v_rcp_f32_e32 v5, v5                                       // 00000001120C: 7E0A4505
	v_rcp_f32_e32 v6, v6                                       // 000000011210: 7E0C4506
	v_rcp_f32_e32 v7, v7                                       // 000000011214: 7E0E4507
	v_mul_f32_e32 v140, v140, v4                               // 000000011218: 0B18098C
	v_mul_f32_e32 v141, v141, v5                               // 00000001121C: 0B1A0B8D
	v_mul_f32_e32 v142, v142, v6                               // 000000011220: 0B1C0D8E
	v_mul_f32_e32 v143, v143, v7                               // 000000011224: 0B1E0F8F
	v_mul_f32_e32 v140, v140, v204                             // 000000011228: 0B19998C
	v_mul_f32_e32 v141, v141, v205                             // 00000001122C: 0B1B9B8D
	v_mul_f32_e32 v142, v142, v206                             // 000000011230: 0B1D9D8E
	v_mul_f32_e32 v143, v143, v207                             // 000000011234: 0B1F9F8F
	s_branch label_3C12                                        // 000000011238: BF820200

000000000001123c <label_3A12>:
	v_mul_f32_e64 v4, -v80, s6                                 // 00000001123C: D1050004 20000D50
	v_mul_f32_e64 v5, -v81, s6                                 // 000000011244: D1050005 20000D51
	v_mul_f32_e64 v6, -v82, s6                                 // 00000001124C: D1050006 20000D52
	v_mul_f32_e64 v7, -v83, s6                                 // 000000011254: D1050007 20000D53
	v_exp_f32_e32 v4, v4                                       // 00000001125C: 7E084104
	v_exp_f32_e32 v5, v5                                       // 000000011260: 7E0A4105
	v_exp_f32_e32 v6, v6                                       // 000000011264: 7E0C4106
	v_exp_f32_e32 v7, v7                                       // 000000011268: 7E0E4107
	v_add_f32_e64 v4, v4, 1.0                                  // 00000001126C: D1010004 0001E504
	v_add_f32_e64 v5, v5, 1.0                                  // 000000011274: D1010005 0001E505
	v_add_f32_e64 v6, v6, 1.0                                  // 00000001127C: D1010006 0001E506
	v_add_f32_e64 v7, v7, 1.0                                  // 000000011284: D1010007 0001E507
	v_rcp_f32_e32 v4, v4                                       // 00000001128C: 7E084504
	v_rcp_f32_e32 v5, v5                                       // 000000011290: 7E0A4505
	v_rcp_f32_e32 v6, v6                                       // 000000011294: 7E0C4506
	v_rcp_f32_e32 v7, v7                                       // 000000011298: 7E0E4507
	v_mul_f32_e32 v80, v80, v4                                 // 00000001129C: 0AA00950
	v_mul_f32_e32 v81, v81, v5                                 // 0000000112A0: 0AA20B51
	v_mul_f32_e32 v82, v82, v6                                 // 0000000112A4: 0AA40D52
	v_mul_f32_e32 v83, v83, v7                                 // 0000000112A8: 0AA60F53
	v_mul_f32_e32 v80, v80, v144                               // 0000000112AC: 0AA12150
	v_mul_f32_e32 v81, v81, v145                               // 0000000112B0: 0AA32351
	v_mul_f32_e32 v82, v82, v146                               // 0000000112B4: 0AA52552
	v_mul_f32_e32 v83, v83, v147                               // 0000000112B8: 0AA72753
	v_mul_f32_e64 v4, -v84, s6                                 // 0000000112BC: D1050004 20000D54
	v_mul_f32_e64 v5, -v85, s6                                 // 0000000112C4: D1050005 20000D55
	v_mul_f32_e64 v6, -v86, s6                                 // 0000000112CC: D1050006 20000D56
	v_mul_f32_e64 v7, -v87, s6                                 // 0000000112D4: D1050007 20000D57
	v_exp_f32_e32 v4, v4                                       // 0000000112DC: 7E084104
	v_exp_f32_e32 v5, v5                                       // 0000000112E0: 7E0A4105
	v_exp_f32_e32 v6, v6                                       // 0000000112E4: 7E0C4106
	v_exp_f32_e32 v7, v7                                       // 0000000112E8: 7E0E4107
	v_add_f32_e64 v4, v4, 1.0                                  // 0000000112EC: D1010004 0001E504
	v_add_f32_e64 v5, v5, 1.0                                  // 0000000112F4: D1010005 0001E505
	v_add_f32_e64 v6, v6, 1.0                                  // 0000000112FC: D1010006 0001E506
	v_add_f32_e64 v7, v7, 1.0                                  // 000000011304: D1010007 0001E507
	v_rcp_f32_e32 v4, v4                                       // 00000001130C: 7E084504
	v_rcp_f32_e32 v5, v5                                       // 000000011310: 7E0A4505
	v_rcp_f32_e32 v6, v6                                       // 000000011314: 7E0C4506
	v_rcp_f32_e32 v7, v7                                       // 000000011318: 7E0E4507
	v_mul_f32_e32 v84, v84, v4                                 // 00000001131C: 0AA80954
	v_mul_f32_e32 v85, v85, v5                                 // 000000011320: 0AAA0B55
	v_mul_f32_e32 v86, v86, v6                                 // 000000011324: 0AAC0D56
	v_mul_f32_e32 v87, v87, v7                                 // 000000011328: 0AAE0F57
	v_mul_f32_e32 v84, v84, v148                               // 00000001132C: 0AA92954
	v_mul_f32_e32 v85, v85, v149                               // 000000011330: 0AAB2B55
	v_mul_f32_e32 v86, v86, v150                               // 000000011334: 0AAD2D56
	v_mul_f32_e32 v87, v87, v151                               // 000000011338: 0AAF2F57
	v_mul_f32_e64 v4, -v88, s6                                 // 00000001133C: D1050004 20000D58
	v_mul_f32_e64 v5, -v89, s6                                 // 000000011344: D1050005 20000D59
	v_mul_f32_e64 v6, -v90, s6                                 // 00000001134C: D1050006 20000D5A
	v_mul_f32_e64 v7, -v91, s6                                 // 000000011354: D1050007 20000D5B
	v_exp_f32_e32 v4, v4                                       // 00000001135C: 7E084104
	v_exp_f32_e32 v5, v5                                       // 000000011360: 7E0A4105
	v_exp_f32_e32 v6, v6                                       // 000000011364: 7E0C4106
	v_exp_f32_e32 v7, v7                                       // 000000011368: 7E0E4107
	v_add_f32_e64 v4, v4, 1.0                                  // 00000001136C: D1010004 0001E504
	v_add_f32_e64 v5, v5, 1.0                                  // 000000011374: D1010005 0001E505
	v_add_f32_e64 v6, v6, 1.0                                  // 00000001137C: D1010006 0001E506
	v_add_f32_e64 v7, v7, 1.0                                  // 000000011384: D1010007 0001E507
	v_rcp_f32_e32 v4, v4                                       // 00000001138C: 7E084504
	v_rcp_f32_e32 v5, v5                                       // 000000011390: 7E0A4505
	v_rcp_f32_e32 v6, v6                                       // 000000011394: 7E0C4506
	v_rcp_f32_e32 v7, v7                                       // 000000011398: 7E0E4507
	v_mul_f32_e32 v88, v88, v4                                 // 00000001139C: 0AB00958
	v_mul_f32_e32 v89, v89, v5                                 // 0000000113A0: 0AB20B59
	v_mul_f32_e32 v90, v90, v6                                 // 0000000113A4: 0AB40D5A
	v_mul_f32_e32 v91, v91, v7                                 // 0000000113A8: 0AB60F5B
	v_mul_f32_e32 v88, v88, v152                               // 0000000113AC: 0AB13158
	v_mul_f32_e32 v89, v89, v153                               // 0000000113B0: 0AB33359
	v_mul_f32_e32 v90, v90, v154                               // 0000000113B4: 0AB5355A
	v_mul_f32_e32 v91, v91, v155                               // 0000000113B8: 0AB7375B
	v_mul_f32_e64 v4, -v92, s6                                 // 0000000113BC: D1050004 20000D5C
	v_mul_f32_e64 v5, -v93, s6                                 // 0000000113C4: D1050005 20000D5D
	v_mul_f32_e64 v6, -v94, s6                                 // 0000000113CC: D1050006 20000D5E
	v_mul_f32_e64 v7, -v95, s6                                 // 0000000113D4: D1050007 20000D5F
	v_exp_f32_e32 v4, v4                                       // 0000000113DC: 7E084104
	v_exp_f32_e32 v5, v5                                       // 0000000113E0: 7E0A4105
	v_exp_f32_e32 v6, v6                                       // 0000000113E4: 7E0C4106
	v_exp_f32_e32 v7, v7                                       // 0000000113E8: 7E0E4107
	v_add_f32_e64 v4, v4, 1.0                                  // 0000000113EC: D1010004 0001E504
	v_add_f32_e64 v5, v5, 1.0                                  // 0000000113F4: D1010005 0001E505
	v_add_f32_e64 v6, v6, 1.0                                  // 0000000113FC: D1010006 0001E506
	v_add_f32_e64 v7, v7, 1.0                                  // 000000011404: D1010007 0001E507
	v_rcp_f32_e32 v4, v4                                       // 00000001140C: 7E084504
	v_rcp_f32_e32 v5, v5                                       // 000000011410: 7E0A4505
	v_rcp_f32_e32 v6, v6                                       // 000000011414: 7E0C4506
	v_rcp_f32_e32 v7, v7                                       // 000000011418: 7E0E4507
	v_mul_f32_e32 v92, v92, v4                                 // 00000001141C: 0AB8095C
	v_mul_f32_e32 v93, v93, v5                                 // 000000011420: 0ABA0B5D
	v_mul_f32_e32 v94, v94, v6                                 // 000000011424: 0ABC0D5E
	v_mul_f32_e32 v95, v95, v7                                 // 000000011428: 0ABE0F5F
	v_mul_f32_e32 v92, v92, v156                               // 00000001142C: 0AB9395C
	v_mul_f32_e32 v93, v93, v157                               // 000000011430: 0ABB3B5D
	v_mul_f32_e32 v94, v94, v158                               // 000000011434: 0ABD3D5E
	v_mul_f32_e32 v95, v95, v159                               // 000000011438: 0ABF3F5F
	v_mul_f32_e64 v4, -v96, s6                                 // 00000001143C: D1050004 20000D60
	v_mul_f32_e64 v5, -v97, s6                                 // 000000011444: D1050005 20000D61
	v_mul_f32_e64 v6, -v98, s6                                 // 00000001144C: D1050006 20000D62
	v_mul_f32_e64 v7, -v99, s6                                 // 000000011454: D1050007 20000D63
	v_exp_f32_e32 v4, v4                                       // 00000001145C: 7E084104
	v_exp_f32_e32 v5, v5                                       // 000000011460: 7E0A4105
	v_exp_f32_e32 v6, v6                                       // 000000011464: 7E0C4106
	v_exp_f32_e32 v7, v7                                       // 000000011468: 7E0E4107
	v_add_f32_e64 v4, v4, 1.0                                  // 00000001146C: D1010004 0001E504
	v_add_f32_e64 v5, v5, 1.0                                  // 000000011474: D1010005 0001E505
	v_add_f32_e64 v6, v6, 1.0                                  // 00000001147C: D1010006 0001E506
	v_add_f32_e64 v7, v7, 1.0                                  // 000000011484: D1010007 0001E507
	v_rcp_f32_e32 v4, v4                                       // 00000001148C: 7E084504
	v_rcp_f32_e32 v5, v5                                       // 000000011490: 7E0A4505
	v_rcp_f32_e32 v6, v6                                       // 000000011494: 7E0C4506
	v_rcp_f32_e32 v7, v7                                       // 000000011498: 7E0E4507
	v_mul_f32_e32 v96, v96, v4                                 // 00000001149C: 0AC00960
	v_mul_f32_e32 v97, v97, v5                                 // 0000000114A0: 0AC20B61
	v_mul_f32_e32 v98, v98, v6                                 // 0000000114A4: 0AC40D62
	v_mul_f32_e32 v99, v99, v7                                 // 0000000114A8: 0AC60F63
	v_mul_f32_e32 v96, v96, v160                               // 0000000114AC: 0AC14160
	v_mul_f32_e32 v97, v97, v161                               // 0000000114B0: 0AC34361
	v_mul_f32_e32 v98, v98, v162                               // 0000000114B4: 0AC54562
	v_mul_f32_e32 v99, v99, v163                               // 0000000114B8: 0AC74763
	v_mul_f32_e64 v4, -v100, s6                                // 0000000114BC: D1050004 20000D64
	v_mul_f32_e64 v5, -v101, s6                                // 0000000114C4: D1050005 20000D65
	v_mul_f32_e64 v6, -v102, s6                                // 0000000114CC: D1050006 20000D66
	v_mul_f32_e64 v7, -v103, s6                                // 0000000114D4: D1050007 20000D67
	v_exp_f32_e32 v4, v4                                       // 0000000114DC: 7E084104
	v_exp_f32_e32 v5, v5                                       // 0000000114E0: 7E0A4105
	v_exp_f32_e32 v6, v6                                       // 0000000114E4: 7E0C4106
	v_exp_f32_e32 v7, v7                                       // 0000000114E8: 7E0E4107
	v_add_f32_e64 v4, v4, 1.0                                  // 0000000114EC: D1010004 0001E504
	v_add_f32_e64 v5, v5, 1.0                                  // 0000000114F4: D1010005 0001E505
	v_add_f32_e64 v6, v6, 1.0                                  // 0000000114FC: D1010006 0001E506
	v_add_f32_e64 v7, v7, 1.0                                  // 000000011504: D1010007 0001E507
	v_rcp_f32_e32 v4, v4                                       // 00000001150C: 7E084504
	v_rcp_f32_e32 v5, v5                                       // 000000011510: 7E0A4505
	v_rcp_f32_e32 v6, v6                                       // 000000011514: 7E0C4506
	v_rcp_f32_e32 v7, v7                                       // 000000011518: 7E0E4507
	v_mul_f32_e32 v100, v100, v4                               // 00000001151C: 0AC80964
	v_mul_f32_e32 v101, v101, v5                               // 000000011520: 0ACA0B65
	v_mul_f32_e32 v102, v102, v6                               // 000000011524: 0ACC0D66
	v_mul_f32_e32 v103, v103, v7                               // 000000011528: 0ACE0F67
	v_mul_f32_e32 v100, v100, v164                             // 00000001152C: 0AC94964
	v_mul_f32_e32 v101, v101, v165                             // 000000011530: 0ACB4B65
	v_mul_f32_e32 v102, v102, v166                             // 000000011534: 0ACD4D66
	v_mul_f32_e32 v103, v103, v167                             // 000000011538: 0ACF4F67
	v_mul_f32_e64 v4, -v104, s6                                // 00000001153C: D1050004 20000D68
	v_mul_f32_e64 v5, -v105, s6                                // 000000011544: D1050005 20000D69
	v_mul_f32_e64 v6, -v106, s6                                // 00000001154C: D1050006 20000D6A
	v_mul_f32_e64 v7, -v107, s6                                // 000000011554: D1050007 20000D6B
	v_exp_f32_e32 v4, v4                                       // 00000001155C: 7E084104
	v_exp_f32_e32 v5, v5                                       // 000000011560: 7E0A4105
	v_exp_f32_e32 v6, v6                                       // 000000011564: 7E0C4106
	v_exp_f32_e32 v7, v7                                       // 000000011568: 7E0E4107
	v_add_f32_e64 v4, v4, 1.0                                  // 00000001156C: D1010004 0001E504
	v_add_f32_e64 v5, v5, 1.0                                  // 000000011574: D1010005 0001E505
	v_add_f32_e64 v6, v6, 1.0                                  // 00000001157C: D1010006 0001E506
	v_add_f32_e64 v7, v7, 1.0                                  // 000000011584: D1010007 0001E507
	v_rcp_f32_e32 v4, v4                                       // 00000001158C: 7E084504
	v_rcp_f32_e32 v5, v5                                       // 000000011590: 7E0A4505
	v_rcp_f32_e32 v6, v6                                       // 000000011594: 7E0C4506
	v_rcp_f32_e32 v7, v7                                       // 000000011598: 7E0E4507
	v_mul_f32_e32 v104, v104, v4                               // 00000001159C: 0AD00968
	v_mul_f32_e32 v105, v105, v5                               // 0000000115A0: 0AD20B69
	v_mul_f32_e32 v106, v106, v6                               // 0000000115A4: 0AD40D6A
	v_mul_f32_e32 v107, v107, v7                               // 0000000115A8: 0AD60F6B
	v_mul_f32_e32 v104, v104, v168                             // 0000000115AC: 0AD15168
	v_mul_f32_e32 v105, v105, v169                             // 0000000115B0: 0AD35369
	v_mul_f32_e32 v106, v106, v170                             // 0000000115B4: 0AD5556A
	v_mul_f32_e32 v107, v107, v171                             // 0000000115B8: 0AD7576B
	v_mul_f32_e64 v4, -v108, s6                                // 0000000115BC: D1050004 20000D6C
	v_mul_f32_e64 v5, -v109, s6                                // 0000000115C4: D1050005 20000D6D
	v_mul_f32_e64 v6, -v110, s6                                // 0000000115CC: D1050006 20000D6E
	v_mul_f32_e64 v7, -v111, s6                                // 0000000115D4: D1050007 20000D6F
	v_exp_f32_e32 v4, v4                                       // 0000000115DC: 7E084104
	v_exp_f32_e32 v5, v5                                       // 0000000115E0: 7E0A4105
	v_exp_f32_e32 v6, v6                                       // 0000000115E4: 7E0C4106
	v_exp_f32_e32 v7, v7                                       // 0000000115E8: 7E0E4107
	v_add_f32_e64 v4, v4, 1.0                                  // 0000000115EC: D1010004 0001E504
	v_add_f32_e64 v5, v5, 1.0                                  // 0000000115F4: D1010005 0001E505
	v_add_f32_e64 v6, v6, 1.0                                  // 0000000115FC: D1010006 0001E506
	v_add_f32_e64 v7, v7, 1.0                                  // 000000011604: D1010007 0001E507
	v_rcp_f32_e32 v4, v4                                       // 00000001160C: 7E084504
	v_rcp_f32_e32 v5, v5                                       // 000000011610: 7E0A4505
	v_rcp_f32_e32 v6, v6                                       // 000000011614: 7E0C4506
	v_rcp_f32_e32 v7, v7                                       // 000000011618: 7E0E4507
	v_mul_f32_e32 v108, v108, v4                               // 00000001161C: 0AD8096C
	v_mul_f32_e32 v109, v109, v5                               // 000000011620: 0ADA0B6D
	v_mul_f32_e32 v110, v110, v6                               // 000000011624: 0ADC0D6E
	v_mul_f32_e32 v111, v111, v7                               // 000000011628: 0ADE0F6F
	v_mul_f32_e32 v108, v108, v172                             // 00000001162C: 0AD9596C
	v_mul_f32_e32 v109, v109, v173                             // 000000011630: 0ADB5B6D
	v_mul_f32_e32 v110, v110, v174                             // 000000011634: 0ADD5D6E
	v_mul_f32_e32 v111, v111, v175                             // 000000011638: 0ADF5F6F
	v_mul_f32_e64 v4, -v112, s6                                // 00000001163C: D1050004 20000D70
	v_mul_f32_e64 v5, -v113, s6                                // 000000011644: D1050005 20000D71
	v_mul_f32_e64 v6, -v114, s6                                // 00000001164C: D1050006 20000D72
	v_mul_f32_e64 v7, -v115, s6                                // 000000011654: D1050007 20000D73
	v_exp_f32_e32 v4, v4                                       // 00000001165C: 7E084104
	v_exp_f32_e32 v5, v5                                       // 000000011660: 7E0A4105
	v_exp_f32_e32 v6, v6                                       // 000000011664: 7E0C4106
	v_exp_f32_e32 v7, v7                                       // 000000011668: 7E0E4107
	v_add_f32_e64 v4, v4, 1.0                                  // 00000001166C: D1010004 0001E504
	v_add_f32_e64 v5, v5, 1.0                                  // 000000011674: D1010005 0001E505
	v_add_f32_e64 v6, v6, 1.0                                  // 00000001167C: D1010006 0001E506
	v_add_f32_e64 v7, v7, 1.0                                  // 000000011684: D1010007 0001E507
	v_rcp_f32_e32 v4, v4                                       // 00000001168C: 7E084504
	v_rcp_f32_e32 v5, v5                                       // 000000011690: 7E0A4505
	v_rcp_f32_e32 v6, v6                                       // 000000011694: 7E0C4506
	v_rcp_f32_e32 v7, v7                                       // 000000011698: 7E0E4507
	v_mul_f32_e32 v112, v112, v4                               // 00000001169C: 0AE00970
	v_mul_f32_e32 v113, v113, v5                               // 0000000116A0: 0AE20B71
	v_mul_f32_e32 v114, v114, v6                               // 0000000116A4: 0AE40D72
	v_mul_f32_e32 v115, v115, v7                               // 0000000116A8: 0AE60F73
	v_mul_f32_e32 v112, v112, v176                             // 0000000116AC: 0AE16170
	v_mul_f32_e32 v113, v113, v177                             // 0000000116B0: 0AE36371
	v_mul_f32_e32 v114, v114, v178                             // 0000000116B4: 0AE56572
	v_mul_f32_e32 v115, v115, v179                             // 0000000116B8: 0AE76773
	v_mul_f32_e64 v4, -v116, s6                                // 0000000116BC: D1050004 20000D74
	v_mul_f32_e64 v5, -v117, s6                                // 0000000116C4: D1050005 20000D75
	v_mul_f32_e64 v6, -v118, s6                                // 0000000116CC: D1050006 20000D76
	v_mul_f32_e64 v7, -v119, s6                                // 0000000116D4: D1050007 20000D77
	v_exp_f32_e32 v4, v4                                       // 0000000116DC: 7E084104
	v_exp_f32_e32 v5, v5                                       // 0000000116E0: 7E0A4105
	v_exp_f32_e32 v6, v6                                       // 0000000116E4: 7E0C4106
	v_exp_f32_e32 v7, v7                                       // 0000000116E8: 7E0E4107
	v_add_f32_e64 v4, v4, 1.0                                  // 0000000116EC: D1010004 0001E504
	v_add_f32_e64 v5, v5, 1.0                                  // 0000000116F4: D1010005 0001E505
	v_add_f32_e64 v6, v6, 1.0                                  // 0000000116FC: D1010006 0001E506
	v_add_f32_e64 v7, v7, 1.0                                  // 000000011704: D1010007 0001E507
	v_rcp_f32_e32 v4, v4                                       // 00000001170C: 7E084504
	v_rcp_f32_e32 v5, v5                                       // 000000011710: 7E0A4505
	v_rcp_f32_e32 v6, v6                                       // 000000011714: 7E0C4506
	v_rcp_f32_e32 v7, v7                                       // 000000011718: 7E0E4507
	v_mul_f32_e32 v116, v116, v4                               // 00000001171C: 0AE80974
	v_mul_f32_e32 v117, v117, v5                               // 000000011720: 0AEA0B75
	v_mul_f32_e32 v118, v118, v6                               // 000000011724: 0AEC0D76
	v_mul_f32_e32 v119, v119, v7                               // 000000011728: 0AEE0F77
	v_mul_f32_e32 v116, v116, v180                             // 00000001172C: 0AE96974
	v_mul_f32_e32 v117, v117, v181                             // 000000011730: 0AEB6B75
	v_mul_f32_e32 v118, v118, v182                             // 000000011734: 0AED6D76
	v_mul_f32_e32 v119, v119, v183                             // 000000011738: 0AEF6F77
	v_mul_f32_e64 v4, -v120, s6                                // 00000001173C: D1050004 20000D78
	v_mul_f32_e64 v5, -v121, s6                                // 000000011744: D1050005 20000D79
	v_mul_f32_e64 v6, -v122, s6                                // 00000001174C: D1050006 20000D7A
	v_mul_f32_e64 v7, -v123, s6                                // 000000011754: D1050007 20000D7B
	v_exp_f32_e32 v4, v4                                       // 00000001175C: 7E084104
	v_exp_f32_e32 v5, v5                                       // 000000011760: 7E0A4105
	v_exp_f32_e32 v6, v6                                       // 000000011764: 7E0C4106
	v_exp_f32_e32 v7, v7                                       // 000000011768: 7E0E4107
	v_add_f32_e64 v4, v4, 1.0                                  // 00000001176C: D1010004 0001E504
	v_add_f32_e64 v5, v5, 1.0                                  // 000000011774: D1010005 0001E505
	v_add_f32_e64 v6, v6, 1.0                                  // 00000001177C: D1010006 0001E506
	v_add_f32_e64 v7, v7, 1.0                                  // 000000011784: D1010007 0001E507
	v_rcp_f32_e32 v4, v4                                       // 00000001178C: 7E084504
	v_rcp_f32_e32 v5, v5                                       // 000000011790: 7E0A4505
	v_rcp_f32_e32 v6, v6                                       // 000000011794: 7E0C4506
	v_rcp_f32_e32 v7, v7                                       // 000000011798: 7E0E4507
	v_mul_f32_e32 v120, v120, v4                               // 00000001179C: 0AF00978
	v_mul_f32_e32 v121, v121, v5                               // 0000000117A0: 0AF20B79
	v_mul_f32_e32 v122, v122, v6                               // 0000000117A4: 0AF40D7A
	v_mul_f32_e32 v123, v123, v7                               // 0000000117A8: 0AF60F7B
	v_mul_f32_e32 v120, v120, v184                             // 0000000117AC: 0AF17178
	v_mul_f32_e32 v121, v121, v185                             // 0000000117B0: 0AF37379
	v_mul_f32_e32 v122, v122, v186                             // 0000000117B4: 0AF5757A
	v_mul_f32_e32 v123, v123, v187                             // 0000000117B8: 0AF7777B
	v_mul_f32_e64 v4, -v124, s6                                // 0000000117BC: D1050004 20000D7C
	v_mul_f32_e64 v5, -v125, s6                                // 0000000117C4: D1050005 20000D7D
	v_mul_f32_e64 v6, -v126, s6                                // 0000000117CC: D1050006 20000D7E
	v_mul_f32_e64 v7, -v127, s6                                // 0000000117D4: D1050007 20000D7F
	v_exp_f32_e32 v4, v4                                       // 0000000117DC: 7E084104
	v_exp_f32_e32 v5, v5                                       // 0000000117E0: 7E0A4105
	v_exp_f32_e32 v6, v6                                       // 0000000117E4: 7E0C4106
	v_exp_f32_e32 v7, v7                                       // 0000000117E8: 7E0E4107
	v_add_f32_e64 v4, v4, 1.0                                  // 0000000117EC: D1010004 0001E504
	v_add_f32_e64 v5, v5, 1.0                                  // 0000000117F4: D1010005 0001E505
	v_add_f32_e64 v6, v6, 1.0                                  // 0000000117FC: D1010006 0001E506
	v_add_f32_e64 v7, v7, 1.0                                  // 000000011804: D1010007 0001E507
	v_rcp_f32_e32 v4, v4                                       // 00000001180C: 7E084504
	v_rcp_f32_e32 v5, v5                                       // 000000011810: 7E0A4505
	v_rcp_f32_e32 v6, v6                                       // 000000011814: 7E0C4506
	v_rcp_f32_e32 v7, v7                                       // 000000011818: 7E0E4507
	v_mul_f32_e32 v124, v124, v4                               // 00000001181C: 0AF8097C
	v_mul_f32_e32 v125, v125, v5                               // 000000011820: 0AFA0B7D
	v_mul_f32_e32 v126, v126, v6                               // 000000011824: 0AFC0D7E
	v_mul_f32_e32 v127, v127, v7                               // 000000011828: 0AFE0F7F
	v_mul_f32_e32 v124, v124, v188                             // 00000001182C: 0AF9797C
	v_mul_f32_e32 v125, v125, v189                             // 000000011830: 0AFB7B7D
	v_mul_f32_e32 v126, v126, v190                             // 000000011834: 0AFD7D7E
	v_mul_f32_e32 v127, v127, v191                             // 000000011838: 0AFF7F7F
	v_mul_f32_e64 v4, -v128, s6                                // 00000001183C: D1050004 20000D80
	v_mul_f32_e64 v5, -v129, s6                                // 000000011844: D1050005 20000D81
	v_mul_f32_e64 v6, -v130, s6                                // 00000001184C: D1050006 20000D82
	v_mul_f32_e64 v7, -v131, s6                                // 000000011854: D1050007 20000D83
	v_exp_f32_e32 v4, v4                                       // 00000001185C: 7E084104
	v_exp_f32_e32 v5, v5                                       // 000000011860: 7E0A4105
	v_exp_f32_e32 v6, v6                                       // 000000011864: 7E0C4106
	v_exp_f32_e32 v7, v7                                       // 000000011868: 7E0E4107
	v_add_f32_e64 v4, v4, 1.0                                  // 00000001186C: D1010004 0001E504
	v_add_f32_e64 v5, v5, 1.0                                  // 000000011874: D1010005 0001E505
	v_add_f32_e64 v6, v6, 1.0                                  // 00000001187C: D1010006 0001E506
	v_add_f32_e64 v7, v7, 1.0                                  // 000000011884: D1010007 0001E507
	v_rcp_f32_e32 v4, v4                                       // 00000001188C: 7E084504
	v_rcp_f32_e32 v5, v5                                       // 000000011890: 7E0A4505
	v_rcp_f32_e32 v6, v6                                       // 000000011894: 7E0C4506
	v_rcp_f32_e32 v7, v7                                       // 000000011898: 7E0E4507
	v_mul_f32_e32 v128, v128, v4                               // 00000001189C: 0B000980
	v_mul_f32_e32 v129, v129, v5                               // 0000000118A0: 0B020B81
	v_mul_f32_e32 v130, v130, v6                               // 0000000118A4: 0B040D82
	v_mul_f32_e32 v131, v131, v7                               // 0000000118A8: 0B060F83
	v_mul_f32_e32 v128, v128, v192                             // 0000000118AC: 0B018180
	v_mul_f32_e32 v129, v129, v193                             // 0000000118B0: 0B038381
	v_mul_f32_e32 v130, v130, v194                             // 0000000118B4: 0B058582
	v_mul_f32_e32 v131, v131, v195                             // 0000000118B8: 0B078783
	v_mul_f32_e64 v4, -v132, s6                                // 0000000118BC: D1050004 20000D84
	v_mul_f32_e64 v5, -v133, s6                                // 0000000118C4: D1050005 20000D85
	v_mul_f32_e64 v6, -v134, s6                                // 0000000118CC: D1050006 20000D86
	v_mul_f32_e64 v7, -v135, s6                                // 0000000118D4: D1050007 20000D87
	v_exp_f32_e32 v4, v4                                       // 0000000118DC: 7E084104
	v_exp_f32_e32 v5, v5                                       // 0000000118E0: 7E0A4105
	v_exp_f32_e32 v6, v6                                       // 0000000118E4: 7E0C4106
	v_exp_f32_e32 v7, v7                                       // 0000000118E8: 7E0E4107
	v_add_f32_e64 v4, v4, 1.0                                  // 0000000118EC: D1010004 0001E504
	v_add_f32_e64 v5, v5, 1.0                                  // 0000000118F4: D1010005 0001E505
	v_add_f32_e64 v6, v6, 1.0                                  // 0000000118FC: D1010006 0001E506
	v_add_f32_e64 v7, v7, 1.0                                  // 000000011904: D1010007 0001E507
	v_rcp_f32_e32 v4, v4                                       // 00000001190C: 7E084504
	v_rcp_f32_e32 v5, v5                                       // 000000011910: 7E0A4505
	v_rcp_f32_e32 v6, v6                                       // 000000011914: 7E0C4506
	v_rcp_f32_e32 v7, v7                                       // 000000011918: 7E0E4507
	v_mul_f32_e32 v132, v132, v4                               // 00000001191C: 0B080984
	v_mul_f32_e32 v133, v133, v5                               // 000000011920: 0B0A0B85
	v_mul_f32_e32 v134, v134, v6                               // 000000011924: 0B0C0D86
	v_mul_f32_e32 v135, v135, v7                               // 000000011928: 0B0E0F87
	v_mul_f32_e32 v132, v132, v196                             // 00000001192C: 0B098984
	v_mul_f32_e32 v133, v133, v197                             // 000000011930: 0B0B8B85
	v_mul_f32_e32 v134, v134, v198                             // 000000011934: 0B0D8D86
	v_mul_f32_e32 v135, v135, v199                             // 000000011938: 0B0F8F87
	v_mul_f32_e64 v4, -v136, s6                                // 00000001193C: D1050004 20000D88
	v_mul_f32_e64 v5, -v137, s6                                // 000000011944: D1050005 20000D89
	v_mul_f32_e64 v6, -v138, s6                                // 00000001194C: D1050006 20000D8A
	v_mul_f32_e64 v7, -v139, s6                                // 000000011954: D1050007 20000D8B
	v_exp_f32_e32 v4, v4                                       // 00000001195C: 7E084104
	v_exp_f32_e32 v5, v5                                       // 000000011960: 7E0A4105
	v_exp_f32_e32 v6, v6                                       // 000000011964: 7E0C4106
	v_exp_f32_e32 v7, v7                                       // 000000011968: 7E0E4107
	v_add_f32_e64 v4, v4, 1.0                                  // 00000001196C: D1010004 0001E504
	v_add_f32_e64 v5, v5, 1.0                                  // 000000011974: D1010005 0001E505
	v_add_f32_e64 v6, v6, 1.0                                  // 00000001197C: D1010006 0001E506
	v_add_f32_e64 v7, v7, 1.0                                  // 000000011984: D1010007 0001E507
	v_rcp_f32_e32 v4, v4                                       // 00000001198C: 7E084504
	v_rcp_f32_e32 v5, v5                                       // 000000011990: 7E0A4505
	v_rcp_f32_e32 v6, v6                                       // 000000011994: 7E0C4506
	v_rcp_f32_e32 v7, v7                                       // 000000011998: 7E0E4507
	v_mul_f32_e32 v136, v136, v4                               // 00000001199C: 0B100988
	v_mul_f32_e32 v137, v137, v5                               // 0000000119A0: 0B120B89
	v_mul_f32_e32 v138, v138, v6                               // 0000000119A4: 0B140D8A
	v_mul_f32_e32 v139, v139, v7                               // 0000000119A8: 0B160F8B
	v_mul_f32_e32 v136, v136, v200                             // 0000000119AC: 0B119188
	v_mul_f32_e32 v137, v137, v201                             // 0000000119B0: 0B139389
	v_mul_f32_e32 v138, v138, v202                             // 0000000119B4: 0B15958A
	v_mul_f32_e32 v139, v139, v203                             // 0000000119B8: 0B17978B
	v_mul_f32_e64 v4, -v140, s6                                // 0000000119BC: D1050004 20000D8C
	v_mul_f32_e64 v5, -v141, s6                                // 0000000119C4: D1050005 20000D8D
	v_mul_f32_e64 v6, -v142, s6                                // 0000000119CC: D1050006 20000D8E
	v_mul_f32_e64 v7, -v143, s6                                // 0000000119D4: D1050007 20000D8F
	v_exp_f32_e32 v4, v4                                       // 0000000119DC: 7E084104
	v_exp_f32_e32 v5, v5                                       // 0000000119E0: 7E0A4105
	v_exp_f32_e32 v6, v6                                       // 0000000119E4: 7E0C4106
	v_exp_f32_e32 v7, v7                                       // 0000000119E8: 7E0E4107
	v_add_f32_e64 v4, v4, 1.0                                  // 0000000119EC: D1010004 0001E504
	v_add_f32_e64 v5, v5, 1.0                                  // 0000000119F4: D1010005 0001E505
	v_add_f32_e64 v6, v6, 1.0                                  // 0000000119FC: D1010006 0001E506
	v_add_f32_e64 v7, v7, 1.0                                  // 000000011A04: D1010007 0001E507
	v_rcp_f32_e32 v4, v4                                       // 000000011A0C: 7E084504
	v_rcp_f32_e32 v5, v5                                       // 000000011A10: 7E0A4505
	v_rcp_f32_e32 v6, v6                                       // 000000011A14: 7E0C4506
	v_rcp_f32_e32 v7, v7                                       // 000000011A18: 7E0E4507
	v_mul_f32_e32 v140, v140, v4                               // 000000011A1C: 0B18098C
	v_mul_f32_e32 v141, v141, v5                               // 000000011A20: 0B1A0B8D
	v_mul_f32_e32 v142, v142, v6                               // 000000011A24: 0B1C0D8E
	v_mul_f32_e32 v143, v143, v7                               // 000000011A28: 0B1E0F8F
	v_mul_f32_e32 v140, v140, v204                             // 000000011A2C: 0B19998C
	v_mul_f32_e32 v141, v141, v205                             // 000000011A30: 0B1B9B8D
	v_mul_f32_e32 v142, v142, v206                             // 000000011A34: 0B1D9D8E
	v_mul_f32_e32 v143, v143, v207                             // 000000011A38: 0B1F9F8F

0000000000011a3c <label_3C12>:
	s_cmp_eq_u32 s7, 0                                         // 000000011A3C: BF068007
	s_cbranch_scc0 label_3C2E                                  // 000000011A40: BF84001A
	v_and_b32_e32 v4, 15, v0                                   // 000000011A44: 2608008F
	v_lshlrev_b32_e32 v4, 2, v4                                // 000000011A48: 24080882
	buffer_load_dword v30, v4, s[12:15], 0 offen               // 000000011A4C: E0501000 80031E04
	v_add_u32_e32 v4, 64, v4                                   // 000000011A54: 680808C0
	buffer_load_dword v31, v4, s[12:15], 0 offen               // 000000011A58: E0501000 80031F04
	v_add_u32_e32 v4, 64, v4                                   // 000000011A60: 680808C0
	buffer_load_dword v32, v4, s[12:15], 0 offen               // 000000011A64: E0501000 80032004
	v_add_u32_e32 v4, 64, v4                                   // 000000011A6C: 680808C0
	buffer_load_dword v33, v4, s[12:15], 0 offen               // 000000011A70: E0501000 80032104
	v_add_u32_e32 v4, 64, v4                                   // 000000011A78: 680808C0
	buffer_load_dword v34, v4, s[12:15], 0 offen               // 000000011A7C: E0501000 80032204
	v_add_u32_e32 v4, 64, v4                                   // 000000011A84: 680808C0
	buffer_load_dword v35, v4, s[12:15], 0 offen               // 000000011A88: E0501000 80032304
	v_add_u32_e32 v4, 64, v4                                   // 000000011A90: 680808C0
	buffer_load_dword v36, v4, s[12:15], 0 offen               // 000000011A94: E0501000 80032404
	v_add_u32_e32 v4, 64, v4                                   // 000000011A9C: 680808C0
	buffer_load_dword v37, v4, s[12:15], 0 offen               // 000000011AA0: E0501000 80032504
	v_add_u32_e32 v4, 64, v4                                   // 000000011AA8: 680808C0

0000000000011aac <label_3C2E>:
	v_lshlrev_b32_e32 v4, 2, v0                                // 000000011AAC: 24080082
	s_mul_i32 s60, 0x100, s7                                   // 000000011AB0: 923C07FF 00000100
	v_add_u32_e32 v152, s60, v4                                // 000000011AB8: 6930083C
	v_and_b32_e32 v4, 15, v0                                   // 000000011ABC: 2608008F
	v_lshlrev_b32_e32 v153, 2, v4                              // 000000011AC0: 25320882
	s_waitcnt lgkmcnt(0)                                       // 000000011AC4: BF8CC07F
	s_barrier                                                  // 000000011AC8: BF8A0000
	v_mov_b32_e32 v144, 0x358637bd                             // 000000011ACC: 7F2002FF 358637BD
	v_max3_f32 v144, |v80|, |v81|, v144                        // 000000011AD4: D1D30390 0642A350
	v_max3_f32 v144, |v82|, |v83|, v144                        // 000000011ADC: D1D30390 0642A752
	v_max3_f32 v144, |v112|, |v113|, v144                      // 000000011AE4: D1D30390 0642E370
	v_max3_f32 v144, |v114|, |v115|, v144                      // 000000011AEC: D1D30390 0642E772
	ds_write_b32 v152, v144                                    // 000000011AF4: D81A0000 00009098
	s_waitcnt lgkmcnt(0)                                       // 000000011AFC: BF8CC07F
	s_barrier                                                  // 000000011B00: BF8A0000
	ds_read_b32 v4, v153                                       // 000000011B04: D86C0000 04000099
	ds_read_b32 v5, v153 offset:64                             // 000000011B0C: D86C0040 05000099
	ds_read_b32 v6, v153 offset:128                            // 000000011B14: D86C0080 06000099
	ds_read_b32 v7, v153 offset:192                            // 000000011B1C: D86C00C0 07000099
	ds_read_b32 v8, v153 offset:256                            // 000000011B24: D86C0100 08000099
	ds_read_b32 v9, v153 offset:320                            // 000000011B2C: D86C0140 09000099
	ds_read_b32 v10, v153 offset:384                           // 000000011B34: D86C0180 0A000099
	ds_read_b32 v11, v153 offset:448                           // 000000011B3C: D86C01C0 0B000099
	ds_read_b32 v12, v153 offset:512                           // 000000011B44: D86C0200 0C000099
	ds_read_b32 v13, v153 offset:576                           // 000000011B4C: D86C0240 0D000099
	ds_read_b32 v14, v153 offset:640                           // 000000011B54: D86C0280 0E000099
	ds_read_b32 v15, v153 offset:704                           // 000000011B5C: D86C02C0 0F000099
	ds_read_b32 v16, v153 offset:768                           // 000000011B64: D86C0300 10000099
	ds_read_b32 v17, v153 offset:832                           // 000000011B6C: D86C0340 11000099
	ds_read_b32 v18, v153 offset:896                           // 000000011B74: D86C0380 12000099
	ds_read_b32 v19, v153 offset:960                           // 000000011B7C: D86C03C0 13000099
	s_waitcnt lgkmcnt(0)                                       // 000000011B84: BF8CC07F
	s_barrier                                                  // 000000011B88: BF8A0000
	v_max3_f32 v144, |v4|, |v5|, v144                          // 000000011B8C: D1D30390 06420B04
	v_max3_f32 v144, |v6|, |v7|, v144                          // 000000011B94: D1D30390 06420F06
	v_max3_f32 v144, |v8|, |v9|, v144                          // 000000011B9C: D1D30390 06421308
	v_max3_f32 v144, |v10|, |v11|, v144                        // 000000011BA4: D1D30390 0642170A
	v_max3_f32 v144, |v12|, |v13|, v144                        // 000000011BAC: D1D30390 06421B0C
	v_max3_f32 v144, |v14|, |v15|, v144                        // 000000011BB4: D1D30390 06421F0E
	v_max3_f32 v144, |v16|, |v17|, v144                        // 000000011BBC: D1D30390 06422310
	v_max3_f32 v144, |v18|, |v19|, v144                        // 000000011BC4: D1D30390 06422712
	v_rcp_f32_e32 v144, v144                                   // 000000011BCC: 7F204590
	v_mov_b32_e32 v4, 0x43700000                               // 000000011BD0: 7E0802FF 43700000
	v_mul_f32_e32 v144, v4, v144                               // 000000011BD8: 0B212104
	v_mov_b32_e32 v4, v144                                     // 000000011BDC: 7E080390
	v_mov_b32_e32 v5, v4                                       // 000000011BE0: 7E0A0304
	v_pk_mul_f32 v[80:81], v[4:5], v[80:81]                    // 000000011BE4: D3B14050 1802A104
	v_pk_mul_f32 v[82:83], v[4:5], v[82:83]                    // 000000011BEC: D3B14052 1802A504
	v_cvt_pk_fp8_f32 v80, v80, v81                             // 000000011BF4: D2A20050 0002A350
	v_cvt_pk_fp8_f32 v80, v82, v83 op_sel:[0,0,1]              // 000000011BFC: D2A24050 0002A752
	v_pk_mul_f32 v[112:113], v[4:5], v[112:113]                // 000000011C04: D3B14070 1802E104
	v_pk_mul_f32 v[114:115], v[4:5], v[114:115]                // 000000011C0C: D3B14072 1802E504
	v_cvt_pk_fp8_f32 v112, v112, v113                          // 000000011C14: D2A20070 0002E370
	v_cvt_pk_fp8_f32 v112, v114, v115 op_sel:[0,0,1]           // 000000011C1C: D2A24070 0002E772
	v_rcp_f32_e32 v144, v144                                   // 000000011C24: 7F204590
	v_mov_b32_e32 v145, 0x358637bd                             // 000000011C28: 7F2202FF 358637BD
	v_max3_f32 v145, |v84|, |v85|, v145                        // 000000011C30: D1D30391 0646AB54
	v_max3_f32 v145, |v86|, |v87|, v145                        // 000000011C38: D1D30391 0646AF56
	v_max3_f32 v145, |v116|, |v117|, v145                      // 000000011C40: D1D30391 0646EB74
	v_max3_f32 v145, |v118|, |v119|, v145                      // 000000011C48: D1D30391 0646EF76
	ds_write_b32 v152, v145                                    // 000000011C50: D81A0000 00009198
	s_waitcnt lgkmcnt(0)                                       // 000000011C58: BF8CC07F
	s_barrier                                                  // 000000011C5C: BF8A0000
	ds_read_b32 v4, v153                                       // 000000011C60: D86C0000 04000099
	ds_read_b32 v5, v153 offset:64                             // 000000011C68: D86C0040 05000099
	ds_read_b32 v6, v153 offset:128                            // 000000011C70: D86C0080 06000099
	ds_read_b32 v7, v153 offset:192                            // 000000011C78: D86C00C0 07000099
	ds_read_b32 v8, v153 offset:256                            // 000000011C80: D86C0100 08000099
	ds_read_b32 v9, v153 offset:320                            // 000000011C88: D86C0140 09000099
	ds_read_b32 v10, v153 offset:384                           // 000000011C90: D86C0180 0A000099
	ds_read_b32 v11, v153 offset:448                           // 000000011C98: D86C01C0 0B000099
	ds_read_b32 v12, v153 offset:512                           // 000000011CA0: D86C0200 0C000099
	ds_read_b32 v13, v153 offset:576                           // 000000011CA8: D86C0240 0D000099
	ds_read_b32 v14, v153 offset:640                           // 000000011CB0: D86C0280 0E000099
	ds_read_b32 v15, v153 offset:704                           // 000000011CB8: D86C02C0 0F000099
	ds_read_b32 v16, v153 offset:768                           // 000000011CC0: D86C0300 10000099
	ds_read_b32 v17, v153 offset:832                           // 000000011CC8: D86C0340 11000099
	ds_read_b32 v18, v153 offset:896                           // 000000011CD0: D86C0380 12000099
	ds_read_b32 v19, v153 offset:960                           // 000000011CD8: D86C03C0 13000099
	s_waitcnt lgkmcnt(0)                                       // 000000011CE0: BF8CC07F
	s_barrier                                                  // 000000011CE4: BF8A0000
	v_max3_f32 v145, |v4|, |v5|, v145                          // 000000011CE8: D1D30391 06460B04
	v_max3_f32 v145, |v6|, |v7|, v145                          // 000000011CF0: D1D30391 06460F06
	v_max3_f32 v145, |v8|, |v9|, v145                          // 000000011CF8: D1D30391 06461308
	v_max3_f32 v145, |v10|, |v11|, v145                        // 000000011D00: D1D30391 0646170A
	v_max3_f32 v145, |v12|, |v13|, v145                        // 000000011D08: D1D30391 06461B0C
	v_max3_f32 v145, |v14|, |v15|, v145                        // 000000011D10: D1D30391 06461F0E
	v_max3_f32 v145, |v16|, |v17|, v145                        // 000000011D18: D1D30391 06462310
	v_max3_f32 v145, |v18|, |v19|, v145                        // 000000011D20: D1D30391 06462712
	v_rcp_f32_e32 v145, v145                                   // 000000011D28: 7F224591
	v_mov_b32_e32 v4, 0x43700000                               // 000000011D2C: 7E0802FF 43700000
	v_mul_f32_e32 v145, v4, v145                               // 000000011D34: 0B232304
	v_mov_b32_e32 v4, v145                                     // 000000011D38: 7E080391
	v_mov_b32_e32 v5, v4                                       // 000000011D3C: 7E0A0304
	v_pk_mul_f32 v[84:85], v[4:5], v[84:85]                    // 000000011D40: D3B14054 1802A904
	v_pk_mul_f32 v[86:87], v[4:5], v[86:87]                    // 000000011D48: D3B14056 1802AD04
	v_cvt_pk_fp8_f32 v84, v84, v85                             // 000000011D50: D2A20054 0002AB54
	v_cvt_pk_fp8_f32 v84, v86, v87 op_sel:[0,0,1]              // 000000011D58: D2A24054 0002AF56
	v_pk_mul_f32 v[116:117], v[4:5], v[116:117]                // 000000011D60: D3B14074 1802E904
	v_pk_mul_f32 v[118:119], v[4:5], v[118:119]                // 000000011D68: D3B14076 1802ED04
	v_cvt_pk_fp8_f32 v116, v116, v117                          // 000000011D70: D2A20074 0002EB74
	v_cvt_pk_fp8_f32 v116, v118, v119 op_sel:[0,0,1]           // 000000011D78: D2A24074 0002EF76
	v_rcp_f32_e32 v145, v145                                   // 000000011D80: 7F224591
	v_mov_b32_e32 v146, 0x358637bd                             // 000000011D84: 7F2402FF 358637BD
	v_max3_f32 v146, |v88|, |v89|, v146                        // 000000011D8C: D1D30392 064AB358
	v_max3_f32 v146, |v90|, |v91|, v146                        // 000000011D94: D1D30392 064AB75A
	v_max3_f32 v146, |v120|, |v121|, v146                      // 000000011D9C: D1D30392 064AF378
	v_max3_f32 v146, |v122|, |v123|, v146                      // 000000011DA4: D1D30392 064AF77A
	ds_write_b32 v152, v146                                    // 000000011DAC: D81A0000 00009298
	s_waitcnt lgkmcnt(0)                                       // 000000011DB4: BF8CC07F
	s_barrier                                                  // 000000011DB8: BF8A0000
	ds_read_b32 v4, v153                                       // 000000011DBC: D86C0000 04000099
	ds_read_b32 v5, v153 offset:64                             // 000000011DC4: D86C0040 05000099
	ds_read_b32 v6, v153 offset:128                            // 000000011DCC: D86C0080 06000099
	ds_read_b32 v7, v153 offset:192                            // 000000011DD4: D86C00C0 07000099
	ds_read_b32 v8, v153 offset:256                            // 000000011DDC: D86C0100 08000099
	ds_read_b32 v9, v153 offset:320                            // 000000011DE4: D86C0140 09000099
	ds_read_b32 v10, v153 offset:384                           // 000000011DEC: D86C0180 0A000099
	ds_read_b32 v11, v153 offset:448                           // 000000011DF4: D86C01C0 0B000099
	ds_read_b32 v12, v153 offset:512                           // 000000011DFC: D86C0200 0C000099
	ds_read_b32 v13, v153 offset:576                           // 000000011E04: D86C0240 0D000099
	ds_read_b32 v14, v153 offset:640                           // 000000011E0C: D86C0280 0E000099
	ds_read_b32 v15, v153 offset:704                           // 000000011E14: D86C02C0 0F000099
	ds_read_b32 v16, v153 offset:768                           // 000000011E1C: D86C0300 10000099
	ds_read_b32 v17, v153 offset:832                           // 000000011E24: D86C0340 11000099
	ds_read_b32 v18, v153 offset:896                           // 000000011E2C: D86C0380 12000099
	ds_read_b32 v19, v153 offset:960                           // 000000011E34: D86C03C0 13000099
	s_waitcnt lgkmcnt(0)                                       // 000000011E3C: BF8CC07F
	s_barrier                                                  // 000000011E40: BF8A0000
	v_max3_f32 v146, |v4|, |v5|, v146                          // 000000011E44: D1D30392 064A0B04
	v_max3_f32 v146, |v6|, |v7|, v146                          // 000000011E4C: D1D30392 064A0F06
	v_max3_f32 v146, |v8|, |v9|, v146                          // 000000011E54: D1D30392 064A1308
	v_max3_f32 v146, |v10|, |v11|, v146                        // 000000011E5C: D1D30392 064A170A
	v_max3_f32 v146, |v12|, |v13|, v146                        // 000000011E64: D1D30392 064A1B0C
	v_max3_f32 v146, |v14|, |v15|, v146                        // 000000011E6C: D1D30392 064A1F0E
	v_max3_f32 v146, |v16|, |v17|, v146                        // 000000011E74: D1D30392 064A2310
	v_max3_f32 v146, |v18|, |v19|, v146                        // 000000011E7C: D1D30392 064A2712
	v_rcp_f32_e32 v146, v146                                   // 000000011E84: 7F244592
	v_mov_b32_e32 v4, 0x43700000                               // 000000011E88: 7E0802FF 43700000
	v_mul_f32_e32 v146, v4, v146                               // 000000011E90: 0B252504
	v_mov_b32_e32 v4, v146                                     // 000000011E94: 7E080392
	v_mov_b32_e32 v5, v4                                       // 000000011E98: 7E0A0304
	v_pk_mul_f32 v[88:89], v[4:5], v[88:89]                    // 000000011E9C: D3B14058 1802B104
	v_pk_mul_f32 v[90:91], v[4:5], v[90:91]                    // 000000011EA4: D3B1405A 1802B504
	v_cvt_pk_fp8_f32 v88, v88, v89                             // 000000011EAC: D2A20058 0002B358
	v_cvt_pk_fp8_f32 v88, v90, v91 op_sel:[0,0,1]              // 000000011EB4: D2A24058 0002B75A
	v_pk_mul_f32 v[120:121], v[4:5], v[120:121]                // 000000011EBC: D3B14078 1802F104
	v_pk_mul_f32 v[122:123], v[4:5], v[122:123]                // 000000011EC4: D3B1407A 1802F504
	v_cvt_pk_fp8_f32 v120, v120, v121                          // 000000011ECC: D2A20078 0002F378
	v_cvt_pk_fp8_f32 v120, v122, v123 op_sel:[0,0,1]           // 000000011ED4: D2A24078 0002F77A
	v_rcp_f32_e32 v146, v146                                   // 000000011EDC: 7F244592
	v_mov_b32_e32 v147, 0x358637bd                             // 000000011EE0: 7F2602FF 358637BD
	v_max3_f32 v147, |v92|, |v93|, v147                        // 000000011EE8: D1D30393 064EBB5C
	v_max3_f32 v147, |v94|, |v95|, v147                        // 000000011EF0: D1D30393 064EBF5E
	v_max3_f32 v147, |v124|, |v125|, v147                      // 000000011EF8: D1D30393 064EFB7C
	v_max3_f32 v147, |v126|, |v127|, v147                      // 000000011F00: D1D30393 064EFF7E
	ds_write_b32 v152, v147                                    // 000000011F08: D81A0000 00009398
	s_waitcnt lgkmcnt(0)                                       // 000000011F10: BF8CC07F
	s_barrier                                                  // 000000011F14: BF8A0000
	ds_read_b32 v4, v153                                       // 000000011F18: D86C0000 04000099
	ds_read_b32 v5, v153 offset:64                             // 000000011F20: D86C0040 05000099
	ds_read_b32 v6, v153 offset:128                            // 000000011F28: D86C0080 06000099
	ds_read_b32 v7, v153 offset:192                            // 000000011F30: D86C00C0 07000099
	ds_read_b32 v8, v153 offset:256                            // 000000011F38: D86C0100 08000099
	ds_read_b32 v9, v153 offset:320                            // 000000011F40: D86C0140 09000099
	ds_read_b32 v10, v153 offset:384                           // 000000011F48: D86C0180 0A000099
	ds_read_b32 v11, v153 offset:448                           // 000000011F50: D86C01C0 0B000099
	ds_read_b32 v12, v153 offset:512                           // 000000011F58: D86C0200 0C000099
	ds_read_b32 v13, v153 offset:576                           // 000000011F60: D86C0240 0D000099
	ds_read_b32 v14, v153 offset:640                           // 000000011F68: D86C0280 0E000099
	ds_read_b32 v15, v153 offset:704                           // 000000011F70: D86C02C0 0F000099
	ds_read_b32 v16, v153 offset:768                           // 000000011F78: D86C0300 10000099
	ds_read_b32 v17, v153 offset:832                           // 000000011F80: D86C0340 11000099
	ds_read_b32 v18, v153 offset:896                           // 000000011F88: D86C0380 12000099
	ds_read_b32 v19, v153 offset:960                           // 000000011F90: D86C03C0 13000099
	s_waitcnt lgkmcnt(0)                                       // 000000011F98: BF8CC07F
	s_barrier                                                  // 000000011F9C: BF8A0000
	v_max3_f32 v147, |v4|, |v5|, v147                          // 000000011FA0: D1D30393 064E0B04
	v_max3_f32 v147, |v6|, |v7|, v147                          // 000000011FA8: D1D30393 064E0F06
	v_max3_f32 v147, |v8|, |v9|, v147                          // 000000011FB0: D1D30393 064E1308
	v_max3_f32 v147, |v10|, |v11|, v147                        // 000000011FB8: D1D30393 064E170A
	v_max3_f32 v147, |v12|, |v13|, v147                        // 000000011FC0: D1D30393 064E1B0C
	v_max3_f32 v147, |v14|, |v15|, v147                        // 000000011FC8: D1D30393 064E1F0E
	v_max3_f32 v147, |v16|, |v17|, v147                        // 000000011FD0: D1D30393 064E2310
	v_max3_f32 v147, |v18|, |v19|, v147                        // 000000011FD8: D1D30393 064E2712
	v_rcp_f32_e32 v147, v147                                   // 000000011FE0: 7F264593
	v_mov_b32_e32 v4, 0x43700000                               // 000000011FE4: 7E0802FF 43700000
	v_mul_f32_e32 v147, v4, v147                               // 000000011FEC: 0B272704
	v_mov_b32_e32 v4, v147                                     // 000000011FF0: 7E080393
	v_mov_b32_e32 v5, v4                                       // 000000011FF4: 7E0A0304
	v_pk_mul_f32 v[92:93], v[4:5], v[92:93]                    // 000000011FF8: D3B1405C 1802B904
	v_pk_mul_f32 v[94:95], v[4:5], v[94:95]                    // 000000012000: D3B1405E 1802BD04
	v_cvt_pk_fp8_f32 v92, v92, v93                             // 000000012008: D2A2005C 0002BB5C
	v_cvt_pk_fp8_f32 v92, v94, v95 op_sel:[0,0,1]              // 000000012010: D2A2405C 0002BF5E
	v_pk_mul_f32 v[124:125], v[4:5], v[124:125]                // 000000012018: D3B1407C 1802F904
	v_pk_mul_f32 v[126:127], v[4:5], v[126:127]                // 000000012020: D3B1407E 1802FD04
	v_cvt_pk_fp8_f32 v124, v124, v125                          // 000000012028: D2A2007C 0002FB7C
	v_cvt_pk_fp8_f32 v124, v126, v127 op_sel:[0,0,1]           // 000000012030: D2A2407C 0002FF7E
	v_rcp_f32_e32 v147, v147                                   // 000000012038: 7F264593
	v_mov_b32_e32 v148, 0x358637bd                             // 00000001203C: 7F2802FF 358637BD
	v_max3_f32 v148, |v96|, |v97|, v148                        // 000000012044: D1D30394 0652C360
	v_max3_f32 v148, |v98|, |v99|, v148                        // 00000001204C: D1D30394 0652C762
	v_max3_f32 v148, |v128|, |v129|, v148                      // 000000012054: D1D30394 06530380
	v_max3_f32 v148, |v130|, |v131|, v148                      // 00000001205C: D1D30394 06530782
	ds_write_b32 v152, v148                                    // 000000012064: D81A0000 00009498
	s_waitcnt lgkmcnt(0)                                       // 00000001206C: BF8CC07F
	s_barrier                                                  // 000000012070: BF8A0000
	ds_read_b32 v4, v153                                       // 000000012074: D86C0000 04000099
	ds_read_b32 v5, v153 offset:64                             // 00000001207C: D86C0040 05000099
	ds_read_b32 v6, v153 offset:128                            // 000000012084: D86C0080 06000099
	ds_read_b32 v7, v153 offset:192                            // 00000001208C: D86C00C0 07000099
	ds_read_b32 v8, v153 offset:256                            // 000000012094: D86C0100 08000099
	ds_read_b32 v9, v153 offset:320                            // 00000001209C: D86C0140 09000099
	ds_read_b32 v10, v153 offset:384                           // 0000000120A4: D86C0180 0A000099
	ds_read_b32 v11, v153 offset:448                           // 0000000120AC: D86C01C0 0B000099
	ds_read_b32 v12, v153 offset:512                           // 0000000120B4: D86C0200 0C000099
	ds_read_b32 v13, v153 offset:576                           // 0000000120BC: D86C0240 0D000099
	ds_read_b32 v14, v153 offset:640                           // 0000000120C4: D86C0280 0E000099
	ds_read_b32 v15, v153 offset:704                           // 0000000120CC: D86C02C0 0F000099
	ds_read_b32 v16, v153 offset:768                           // 0000000120D4: D86C0300 10000099
	ds_read_b32 v17, v153 offset:832                           // 0000000120DC: D86C0340 11000099
	ds_read_b32 v18, v153 offset:896                           // 0000000120E4: D86C0380 12000099
	ds_read_b32 v19, v153 offset:960                           // 0000000120EC: D86C03C0 13000099
	s_waitcnt lgkmcnt(0)                                       // 0000000120F4: BF8CC07F
	s_barrier                                                  // 0000000120F8: BF8A0000
	v_max3_f32 v148, |v4|, |v5|, v148                          // 0000000120FC: D1D30394 06520B04
	v_max3_f32 v148, |v6|, |v7|, v148                          // 000000012104: D1D30394 06520F06
	v_max3_f32 v148, |v8|, |v9|, v148                          // 00000001210C: D1D30394 06521308
	v_max3_f32 v148, |v10|, |v11|, v148                        // 000000012114: D1D30394 0652170A
	v_max3_f32 v148, |v12|, |v13|, v148                        // 00000001211C: D1D30394 06521B0C
	v_max3_f32 v148, |v14|, |v15|, v148                        // 000000012124: D1D30394 06521F0E
	v_max3_f32 v148, |v16|, |v17|, v148                        // 00000001212C: D1D30394 06522310
	v_max3_f32 v148, |v18|, |v19|, v148                        // 000000012134: D1D30394 06522712
	v_rcp_f32_e32 v148, v148                                   // 00000001213C: 7F284594
	v_mov_b32_e32 v4, 0x43700000                               // 000000012140: 7E0802FF 43700000
	v_mul_f32_e32 v148, v4, v148                               // 000000012148: 0B292904
	v_mov_b32_e32 v4, v148                                     // 00000001214C: 7E080394
	v_mov_b32_e32 v5, v4                                       // 000000012150: 7E0A0304
	v_pk_mul_f32 v[96:97], v[4:5], v[96:97]                    // 000000012154: D3B14060 1802C104
	v_pk_mul_f32 v[98:99], v[4:5], v[98:99]                    // 00000001215C: D3B14062 1802C504
	v_cvt_pk_fp8_f32 v96, v96, v97                             // 000000012164: D2A20060 0002C360
	v_cvt_pk_fp8_f32 v96, v98, v99 op_sel:[0,0,1]              // 00000001216C: D2A24060 0002C762
	v_pk_mul_f32 v[128:129], v[4:5], v[128:129]                // 000000012174: D3B14080 18030104
	v_pk_mul_f32 v[130:131], v[4:5], v[130:131]                // 00000001217C: D3B14082 18030504
	v_cvt_pk_fp8_f32 v128, v128, v129                          // 000000012184: D2A20080 00030380
	v_cvt_pk_fp8_f32 v128, v130, v131 op_sel:[0,0,1]           // 00000001218C: D2A24080 00030782
	v_rcp_f32_e32 v148, v148                                   // 000000012194: 7F284594
	v_mov_b32_e32 v149, 0x358637bd                             // 000000012198: 7F2A02FF 358637BD
	v_max3_f32 v149, |v100|, |v101|, v149                      // 0000000121A0: D1D30395 0656CB64
	v_max3_f32 v149, |v102|, |v103|, v149                      // 0000000121A8: D1D30395 0656CF66
	v_max3_f32 v149, |v132|, |v133|, v149                      // 0000000121B0: D1D30395 06570B84
	v_max3_f32 v149, |v134|, |v135|, v149                      // 0000000121B8: D1D30395 06570F86
	ds_write_b32 v152, v149                                    // 0000000121C0: D81A0000 00009598
	s_waitcnt lgkmcnt(0)                                       // 0000000121C8: BF8CC07F
	s_barrier                                                  // 0000000121CC: BF8A0000
	ds_read_b32 v4, v153                                       // 0000000121D0: D86C0000 04000099
	ds_read_b32 v5, v153 offset:64                             // 0000000121D8: D86C0040 05000099
	ds_read_b32 v6, v153 offset:128                            // 0000000121E0: D86C0080 06000099
	ds_read_b32 v7, v153 offset:192                            // 0000000121E8: D86C00C0 07000099
	ds_read_b32 v8, v153 offset:256                            // 0000000121F0: D86C0100 08000099
	ds_read_b32 v9, v153 offset:320                            // 0000000121F8: D86C0140 09000099
	ds_read_b32 v10, v153 offset:384                           // 000000012200: D86C0180 0A000099
	ds_read_b32 v11, v153 offset:448                           // 000000012208: D86C01C0 0B000099
	ds_read_b32 v12, v153 offset:512                           // 000000012210: D86C0200 0C000099
	ds_read_b32 v13, v153 offset:576                           // 000000012218: D86C0240 0D000099
	ds_read_b32 v14, v153 offset:640                           // 000000012220: D86C0280 0E000099
	ds_read_b32 v15, v153 offset:704                           // 000000012228: D86C02C0 0F000099
	ds_read_b32 v16, v153 offset:768                           // 000000012230: D86C0300 10000099
	ds_read_b32 v17, v153 offset:832                           // 000000012238: D86C0340 11000099
	ds_read_b32 v18, v153 offset:896                           // 000000012240: D86C0380 12000099
	ds_read_b32 v19, v153 offset:960                           // 000000012248: D86C03C0 13000099
	s_waitcnt lgkmcnt(0)                                       // 000000012250: BF8CC07F
	s_barrier                                                  // 000000012254: BF8A0000
	v_max3_f32 v149, |v4|, |v5|, v149                          // 000000012258: D1D30395 06560B04
	v_max3_f32 v149, |v6|, |v7|, v149                          // 000000012260: D1D30395 06560F06
	v_max3_f32 v149, |v8|, |v9|, v149                          // 000000012268: D1D30395 06561308
	v_max3_f32 v149, |v10|, |v11|, v149                        // 000000012270: D1D30395 0656170A
	v_max3_f32 v149, |v12|, |v13|, v149                        // 000000012278: D1D30395 06561B0C
	v_max3_f32 v149, |v14|, |v15|, v149                        // 000000012280: D1D30395 06561F0E
	v_max3_f32 v149, |v16|, |v17|, v149                        // 000000012288: D1D30395 06562310
	v_max3_f32 v149, |v18|, |v19|, v149                        // 000000012290: D1D30395 06562712
	v_rcp_f32_e32 v149, v149                                   // 000000012298: 7F2A4595
	v_mov_b32_e32 v4, 0x43700000                               // 00000001229C: 7E0802FF 43700000
	v_mul_f32_e32 v149, v4, v149                               // 0000000122A4: 0B2B2B04
	v_mov_b32_e32 v4, v149                                     // 0000000122A8: 7E080395
	v_mov_b32_e32 v5, v4                                       // 0000000122AC: 7E0A0304
	v_pk_mul_f32 v[100:101], v[4:5], v[100:101]                // 0000000122B0: D3B14064 1802C904
	v_pk_mul_f32 v[102:103], v[4:5], v[102:103]                // 0000000122B8: D3B14066 1802CD04
	v_cvt_pk_fp8_f32 v100, v100, v101                          // 0000000122C0: D2A20064 0002CB64
	v_cvt_pk_fp8_f32 v100, v102, v103 op_sel:[0,0,1]           // 0000000122C8: D2A24064 0002CF66
	v_pk_mul_f32 v[132:133], v[4:5], v[132:133]                // 0000000122D0: D3B14084 18030904
	v_pk_mul_f32 v[134:135], v[4:5], v[134:135]                // 0000000122D8: D3B14086 18030D04
	v_cvt_pk_fp8_f32 v132, v132, v133                          // 0000000122E0: D2A20084 00030B84
	v_cvt_pk_fp8_f32 v132, v134, v135 op_sel:[0,0,1]           // 0000000122E8: D2A24084 00030F86
	v_rcp_f32_e32 v149, v149                                   // 0000000122F0: 7F2A4595
	v_mov_b32_e32 v150, 0x358637bd                             // 0000000122F4: 7F2C02FF 358637BD
	v_max3_f32 v150, |v104|, |v105|, v150                      // 0000000122FC: D1D30396 065AD368
	v_max3_f32 v150, |v106|, |v107|, v150                      // 000000012304: D1D30396 065AD76A
	v_max3_f32 v150, |v136|, |v137|, v150                      // 00000001230C: D1D30396 065B1388
	v_max3_f32 v150, |v138|, |v139|, v150                      // 000000012314: D1D30396 065B178A
	ds_write_b32 v152, v150                                    // 00000001231C: D81A0000 00009698
	s_waitcnt lgkmcnt(0)                                       // 000000012324: BF8CC07F
	s_barrier                                                  // 000000012328: BF8A0000
	ds_read_b32 v4, v153                                       // 00000001232C: D86C0000 04000099
	ds_read_b32 v5, v153 offset:64                             // 000000012334: D86C0040 05000099
	ds_read_b32 v6, v153 offset:128                            // 00000001233C: D86C0080 06000099
	ds_read_b32 v7, v153 offset:192                            // 000000012344: D86C00C0 07000099
	ds_read_b32 v8, v153 offset:256                            // 00000001234C: D86C0100 08000099
	ds_read_b32 v9, v153 offset:320                            // 000000012354: D86C0140 09000099
	ds_read_b32 v10, v153 offset:384                           // 00000001235C: D86C0180 0A000099
	ds_read_b32 v11, v153 offset:448                           // 000000012364: D86C01C0 0B000099
	ds_read_b32 v12, v153 offset:512                           // 00000001236C: D86C0200 0C000099
	ds_read_b32 v13, v153 offset:576                           // 000000012374: D86C0240 0D000099
	ds_read_b32 v14, v153 offset:640                           // 00000001237C: D86C0280 0E000099
	ds_read_b32 v15, v153 offset:704                           // 000000012384: D86C02C0 0F000099
	ds_read_b32 v16, v153 offset:768                           // 00000001238C: D86C0300 10000099
	ds_read_b32 v17, v153 offset:832                           // 000000012394: D86C0340 11000099
	ds_read_b32 v18, v153 offset:896                           // 00000001239C: D86C0380 12000099
	ds_read_b32 v19, v153 offset:960                           // 0000000123A4: D86C03C0 13000099
	s_waitcnt lgkmcnt(0)                                       // 0000000123AC: BF8CC07F
	s_barrier                                                  // 0000000123B0: BF8A0000
	v_max3_f32 v150, |v4|, |v5|, v150                          // 0000000123B4: D1D30396 065A0B04
	v_max3_f32 v150, |v6|, |v7|, v150                          // 0000000123BC: D1D30396 065A0F06
	v_max3_f32 v150, |v8|, |v9|, v150                          // 0000000123C4: D1D30396 065A1308
	v_max3_f32 v150, |v10|, |v11|, v150                        // 0000000123CC: D1D30396 065A170A
	v_max3_f32 v150, |v12|, |v13|, v150                        // 0000000123D4: D1D30396 065A1B0C
	v_max3_f32 v150, |v14|, |v15|, v150                        // 0000000123DC: D1D30396 065A1F0E
	v_max3_f32 v150, |v16|, |v17|, v150                        // 0000000123E4: D1D30396 065A2310
	v_max3_f32 v150, |v18|, |v19|, v150                        // 0000000123EC: D1D30396 065A2712
	v_rcp_f32_e32 v150, v150                                   // 0000000123F4: 7F2C4596
	v_mov_b32_e32 v4, 0x43700000                               // 0000000123F8: 7E0802FF 43700000
	v_mul_f32_e32 v150, v4, v150                               // 000000012400: 0B2D2D04
	v_mov_b32_e32 v4, v150                                     // 000000012404: 7E080396
	v_mov_b32_e32 v5, v4                                       // 000000012408: 7E0A0304
	v_pk_mul_f32 v[104:105], v[4:5], v[104:105]                // 00000001240C: D3B14068 1802D104
	v_pk_mul_f32 v[106:107], v[4:5], v[106:107]                // 000000012414: D3B1406A 1802D504
	v_cvt_pk_fp8_f32 v104, v104, v105                          // 00000001241C: D2A20068 0002D368
	v_cvt_pk_fp8_f32 v104, v106, v107 op_sel:[0,0,1]           // 000000012424: D2A24068 0002D76A
	v_pk_mul_f32 v[136:137], v[4:5], v[136:137]                // 00000001242C: D3B14088 18031104
	v_pk_mul_f32 v[138:139], v[4:5], v[138:139]                // 000000012434: D3B1408A 18031504
	v_cvt_pk_fp8_f32 v136, v136, v137                          // 00000001243C: D2A20088 00031388
	v_cvt_pk_fp8_f32 v136, v138, v139 op_sel:[0,0,1]           // 000000012444: D2A24088 0003178A
	v_rcp_f32_e32 v150, v150                                   // 00000001244C: 7F2C4596
	v_mov_b32_e32 v151, 0x358637bd                             // 000000012450: 7F2E02FF 358637BD
	v_max3_f32 v151, |v108|, |v109|, v151                      // 000000012458: D1D30397 065EDB6C
	v_max3_f32 v151, |v110|, |v111|, v151                      // 000000012460: D1D30397 065EDF6E
	v_max3_f32 v151, |v140|, |v141|, v151                      // 000000012468: D1D30397 065F1B8C
	v_max3_f32 v151, |v142|, |v143|, v151                      // 000000012470: D1D30397 065F1F8E
	ds_write_b32 v152, v151                                    // 000000012478: D81A0000 00009798
	s_waitcnt lgkmcnt(0)                                       // 000000012480: BF8CC07F
	s_barrier                                                  // 000000012484: BF8A0000
	ds_read_b32 v4, v153                                       // 000000012488: D86C0000 04000099
	ds_read_b32 v5, v153 offset:64                             // 000000012490: D86C0040 05000099
	ds_read_b32 v6, v153 offset:128                            // 000000012498: D86C0080 06000099
	ds_read_b32 v7, v153 offset:192                            // 0000000124A0: D86C00C0 07000099
	ds_read_b32 v8, v153 offset:256                            // 0000000124A8: D86C0100 08000099
	ds_read_b32 v9, v153 offset:320                            // 0000000124B0: D86C0140 09000099
	ds_read_b32 v10, v153 offset:384                           // 0000000124B8: D86C0180 0A000099
	ds_read_b32 v11, v153 offset:448                           // 0000000124C0: D86C01C0 0B000099
	ds_read_b32 v12, v153 offset:512                           // 0000000124C8: D86C0200 0C000099
	ds_read_b32 v13, v153 offset:576                           // 0000000124D0: D86C0240 0D000099
	ds_read_b32 v14, v153 offset:640                           // 0000000124D8: D86C0280 0E000099
	ds_read_b32 v15, v153 offset:704                           // 0000000124E0: D86C02C0 0F000099
	ds_read_b32 v16, v153 offset:768                           // 0000000124E8: D86C0300 10000099
	ds_read_b32 v17, v153 offset:832                           // 0000000124F0: D86C0340 11000099
	ds_read_b32 v18, v153 offset:896                           // 0000000124F8: D86C0380 12000099
	ds_read_b32 v19, v153 offset:960                           // 000000012500: D86C03C0 13000099
	s_waitcnt lgkmcnt(0)                                       // 000000012508: BF8CC07F
	s_barrier                                                  // 00000001250C: BF8A0000
	v_max3_f32 v151, |v4|, |v5|, v151                          // 000000012510: D1D30397 065E0B04
	v_max3_f32 v151, |v6|, |v7|, v151                          // 000000012518: D1D30397 065E0F06
	v_max3_f32 v151, |v8|, |v9|, v151                          // 000000012520: D1D30397 065E1308
	v_max3_f32 v151, |v10|, |v11|, v151                        // 000000012528: D1D30397 065E170A
	v_max3_f32 v151, |v12|, |v13|, v151                        // 000000012530: D1D30397 065E1B0C
	v_max3_f32 v151, |v14|, |v15|, v151                        // 000000012538: D1D30397 065E1F0E
	v_max3_f32 v151, |v16|, |v17|, v151                        // 000000012540: D1D30397 065E2310
	v_max3_f32 v151, |v18|, |v19|, v151                        // 000000012548: D1D30397 065E2712
	v_rcp_f32_e32 v151, v151                                   // 000000012550: 7F2E4597
	v_mov_b32_e32 v4, 0x43700000                               // 000000012554: 7E0802FF 43700000
	v_mul_f32_e32 v151, v4, v151                               // 00000001255C: 0B2F2F04
	v_mov_b32_e32 v4, v151                                     // 000000012560: 7E080397
	v_mov_b32_e32 v5, v4                                       // 000000012564: 7E0A0304
	v_pk_mul_f32 v[108:109], v[4:5], v[108:109]                // 000000012568: D3B1406C 1802D904
	v_pk_mul_f32 v[110:111], v[4:5], v[110:111]                // 000000012570: D3B1406E 1802DD04
	v_cvt_pk_fp8_f32 v108, v108, v109                          // 000000012578: D2A2006C 0002DB6C
	v_cvt_pk_fp8_f32 v108, v110, v111 op_sel:[0,0,1]           // 000000012580: D2A2406C 0002DF6E
	v_pk_mul_f32 v[140:141], v[4:5], v[140:141]                // 000000012588: D3B1408C 18031904
	v_pk_mul_f32 v[142:143], v[4:5], v[142:143]                // 000000012590: D3B1408E 18031D04
	v_cvt_pk_fp8_f32 v140, v140, v141                          // 000000012598: D2A2008C 00031B8C
	v_cvt_pk_fp8_f32 v140, v142, v143 op_sel:[0,0,1]           // 0000000125A0: D2A2408C 00031F8E
	v_rcp_f32_e32 v151, v151                                   // 0000000125A8: 7F2E4597
	v_lshrrev_b32_e32 v4, 5, v0                                // 0000000125AC: 20080085
	v_mul_lo_u32 v20, 34, v4                                   // 0000000125B0: D2850014 000208A2
	v_and_b32_e32 v4, 31, v0                                   // 0000000125B8: 2608009F
	v_lshrrev_b32_e32 v5, 4, v4                                // 0000000125BC: 200A0884
	v_add_u32_e32 v20, v5, v20                                 // 0000000125C0: 68282905
	v_and_b32_e32 v4, 15, v0                                   // 0000000125C4: 2608008F
	v_mul_lo_u32 v5, 2, v4                                     // 0000000125C8: D2850005 00020882
	v_add_u32_e32 v20, v5, v20                                 // 0000000125D0: 68282905
	s_mul_i32 s60, s7, 0x44                                    // 0000000125D4: 923CFF07 00000044
	v_add_u32_e32 v20, s60, v20                                // 0000000125DC: 6828283C
	v_lshlrev_b32_e32 v20, 2, v20                              // 0000000125E0: 24282882
	ds_write_b32 v20, v80                                      // 0000000125E4: D81A0000 00005014
	ds_write_b32 v20, v84 offset:2176                          // 0000000125EC: D81A0880 00005414
	ds_write_b32 v20, v88 offset:4352                          // 0000000125F4: D81A1100 00005814
	ds_write_b32 v20, v92 offset:6528                          // 0000000125FC: D81A1980 00005C14
	ds_write_b32 v20, v96 offset:8704                          // 000000012604: D81A2200 00006014
	ds_write_b32 v20, v100 offset:10880                        // 00000001260C: D81A2A80 00006414
	ds_write_b32 v20, v104 offset:13056                        // 000000012614: D81A3300 00006814
	ds_write_b32 v20, v108 offset:15232                        // 00000001261C: D81A3B80 00006C14
	ds_write_b32 v20, v112 offset:1088                         // 000000012624: D81A0440 00007014
	ds_write_b32 v20, v116 offset:3264                         // 00000001262C: D81A0CC0 00007414
	ds_write_b32 v20, v120 offset:5440                         // 000000012634: D81A1540 00007814
	ds_write_b32 v20, v124 offset:7616                         // 00000001263C: D81A1DC0 00007C14
	ds_write_b32 v20, v128 offset:9792                         // 000000012644: D81A2640 00008014
	ds_write_b32 v20, v132 offset:11968                        // 00000001264C: D81A2EC0 00008414
	ds_write_b32 v20, v136 offset:14144                        // 000000012654: D81A3740 00008814
	ds_write_b32 v20, v140 offset:16320                        // 00000001265C: D81A3FC0 00008C14
	v_lshrrev_b32_e32 v4, 5, v0                                // 000000012664: 20080085
	v_xor_b32_e32 v5, 1, v4                                    // 000000012668: 2A0A0881
	s_mul_i32 s60, s65, 1                                      // 00000001266C: 923C8141
	s_cmp_eq_u32 s88, 0                                        // 000000012670: BF068058
	s_cselect_b32 s61, 1, 8                                    // 000000012674: 853D8881
	s_mul_i32 s60, s61, s60                                    // 000000012678: 923C3C3D
	v_readlane_b32 s82, v3, 0                                  // 00000001267C: D2890052 00010103
	s_lshr_b32 s61, s82, 24                                    // 000000012684: 8F3D9852
	s_and_b32 s82, s82, 0xffffff                               // 000000012688: 8652FF52 00FFFFFF
	s_mul_i32 s82, s82, s71                                    // 000000012690: 92524752
	s_mul_i32 s61, s60, s61                                    // 000000012694: 923D3D3C
	s_add_u32 s82, s82, s61                                    // 000000012698: 80523D52
	v_mul_lo_u32 v6, v5, s82                                   // 00000001269C: D2850006 0000A505
	v_readlane_b32 s82, v3, 1                                  // 0000000126A4: D2890052 00010303
	s_lshr_b32 s61, s82, 24                                    // 0000000126AC: 8F3D9852
	s_and_b32 s82, s82, 0xffffff                               // 0000000126B0: 8652FF52 00FFFFFF
	s_mul_i32 s82, s82, s71                                    // 0000000126B8: 92524752
	s_mul_i32 s61, s60, s61                                    // 0000000126BC: 923D3D3C
	s_add_u32 s82, s82, s61                                    // 0000000126C0: 80523D52
	v_mul_lo_u32 v7, v4, s82                                   // 0000000126C4: D2850007 0000A504
	v_add_u32_e32 v62, v6, v7                                  // 0000000126CC: 687C0F06
	v_readlane_b32 s82, v3, 2                                  // 0000000126D0: D2890052 00010503
	s_lshr_b32 s61, s82, 24                                    // 0000000126D8: 8F3D9852
	s_and_b32 s82, s82, 0xffffff                               // 0000000126DC: 8652FF52 00FFFFFF
	s_mul_i32 s82, s82, s71                                    // 0000000126E4: 92524752
	s_mul_i32 s61, s60, s61                                    // 0000000126E8: 923D3D3C
	s_add_u32 s82, s82, s61                                    // 0000000126EC: 80523D52
	v_mul_lo_u32 v6, v5, s82                                   // 0000000126F0: D2850006 0000A505
	v_readlane_b32 s82, v3, 3                                  // 0000000126F8: D2890052 00010703
	s_lshr_b32 s61, s82, 24                                    // 000000012700: 8F3D9852
	s_and_b32 s82, s82, 0xffffff                               // 000000012704: 8652FF52 00FFFFFF
	s_mul_i32 s82, s82, s71                                    // 00000001270C: 92524752
	s_mul_i32 s61, s60, s61                                    // 000000012710: 923D3D3C
	s_add_u32 s82, s82, s61                                    // 000000012714: 80523D52
	v_mul_lo_u32 v7, v4, s82                                   // 000000012718: D2850007 0000A504
	v_add_u32_e32 v63, v6, v7                                  // 000000012720: 687E0F06
	v_readlane_b32 s82, v3, 4                                  // 000000012724: D2890052 00010903
	s_lshr_b32 s61, s82, 24                                    // 00000001272C: 8F3D9852
	s_and_b32 s82, s82, 0xffffff                               // 000000012730: 8652FF52 00FFFFFF
	s_mul_i32 s82, s82, s71                                    // 000000012738: 92524752
	s_mul_i32 s61, s60, s61                                    // 00000001273C: 923D3D3C
	s_add_u32 s82, s82, s61                                    // 000000012740: 80523D52
	v_mul_lo_u32 v6, v5, s82                                   // 000000012744: D2850006 0000A505
	v_readlane_b32 s82, v3, 5                                  // 00000001274C: D2890052 00010B03
	s_lshr_b32 s61, s82, 24                                    // 000000012754: 8F3D9852
	s_and_b32 s82, s82, 0xffffff                               // 000000012758: 8652FF52 00FFFFFF
	s_mul_i32 s82, s82, s71                                    // 000000012760: 92524752
	s_mul_i32 s61, s60, s61                                    // 000000012764: 923D3D3C
	s_add_u32 s82, s82, s61                                    // 000000012768: 80523D52
	v_mul_lo_u32 v7, v4, s82                                   // 00000001276C: D2850007 0000A504
	v_add_u32_e32 v64, v6, v7                                  // 000000012774: 68800F06
	v_readlane_b32 s82, v3, 6                                  // 000000012778: D2890052 00010D03
	s_lshr_b32 s61, s82, 24                                    // 000000012780: 8F3D9852
	s_and_b32 s82, s82, 0xffffff                               // 000000012784: 8652FF52 00FFFFFF
	s_mul_i32 s82, s82, s71                                    // 00000001278C: 92524752
	s_mul_i32 s61, s60, s61                                    // 000000012790: 923D3D3C
	s_add_u32 s82, s82, s61                                    // 000000012794: 80523D52
	v_mul_lo_u32 v6, v5, s82                                   // 000000012798: D2850006 0000A505
	v_readlane_b32 s82, v3, 7                                  // 0000000127A0: D2890052 00010F03
	s_lshr_b32 s61, s82, 24                                    // 0000000127A8: 8F3D9852
	s_and_b32 s82, s82, 0xffffff                               // 0000000127AC: 8652FF52 00FFFFFF
	s_mul_i32 s82, s82, s71                                    // 0000000127B4: 92524752
	s_mul_i32 s61, s60, s61                                    // 0000000127B8: 923D3D3C
	s_add_u32 s82, s82, s61                                    // 0000000127BC: 80523D52
	v_mul_lo_u32 v7, v4, s82                                   // 0000000127C0: D2850007 0000A504
	v_add_u32_e32 v65, v6, v7                                  // 0000000127C8: 68820F06
	v_readlane_b32 s82, v3, 8                                  // 0000000127CC: D2890052 00011103
	s_lshr_b32 s61, s82, 24                                    // 0000000127D4: 8F3D9852
	s_and_b32 s82, s82, 0xffffff                               // 0000000127D8: 8652FF52 00FFFFFF
	s_mul_i32 s82, s82, s71                                    // 0000000127E0: 92524752
	s_mul_i32 s61, s60, s61                                    // 0000000127E4: 923D3D3C
	s_add_u32 s82, s82, s61                                    // 0000000127E8: 80523D52
	v_mul_lo_u32 v6, v5, s82                                   // 0000000127EC: D2850006 0000A505
	v_readlane_b32 s82, v3, 9                                  // 0000000127F4: D2890052 00011303
	s_lshr_b32 s61, s82, 24                                    // 0000000127FC: 8F3D9852
	s_and_b32 s82, s82, 0xffffff                               // 000000012800: 8652FF52 00FFFFFF
	s_mul_i32 s82, s82, s71                                    // 000000012808: 92524752
	s_mul_i32 s61, s60, s61                                    // 00000001280C: 923D3D3C
	s_add_u32 s82, s82, s61                                    // 000000012810: 80523D52
	v_mul_lo_u32 v7, v4, s82                                   // 000000012814: D2850007 0000A504
	v_add_u32_e32 v66, v6, v7                                  // 00000001281C: 68840F06
	v_readlane_b32 s82, v3, 10                                 // 000000012820: D2890052 00011503
	s_lshr_b32 s61, s82, 24                                    // 000000012828: 8F3D9852
	s_and_b32 s82, s82, 0xffffff                               // 00000001282C: 8652FF52 00FFFFFF
	s_mul_i32 s82, s82, s71                                    // 000000012834: 92524752
	s_mul_i32 s61, s60, s61                                    // 000000012838: 923D3D3C
	s_add_u32 s82, s82, s61                                    // 00000001283C: 80523D52
	v_mul_lo_u32 v6, v5, s82                                   // 000000012840: D2850006 0000A505
	v_readlane_b32 s82, v3, 11                                 // 000000012848: D2890052 00011703
	s_lshr_b32 s61, s82, 24                                    // 000000012850: 8F3D9852
	s_and_b32 s82, s82, 0xffffff                               // 000000012854: 8652FF52 00FFFFFF
	s_mul_i32 s82, s82, s71                                    // 00000001285C: 92524752
	s_mul_i32 s61, s60, s61                                    // 000000012860: 923D3D3C
	s_add_u32 s82, s82, s61                                    // 000000012864: 80523D52
	v_mul_lo_u32 v7, v4, s82                                   // 000000012868: D2850007 0000A504
	v_add_u32_e32 v67, v6, v7                                  // 000000012870: 68860F06
	v_readlane_b32 s82, v3, 12                                 // 000000012874: D2890052 00011903
	s_lshr_b32 s61, s82, 24                                    // 00000001287C: 8F3D9852
	s_and_b32 s82, s82, 0xffffff                               // 000000012880: 8652FF52 00FFFFFF
	s_mul_i32 s82, s82, s71                                    // 000000012888: 92524752
	s_mul_i32 s61, s60, s61                                    // 00000001288C: 923D3D3C
	s_add_u32 s82, s82, s61                                    // 000000012890: 80523D52
	v_mul_lo_u32 v6, v5, s82                                   // 000000012894: D2850006 0000A505
	v_readlane_b32 s82, v3, 13                                 // 00000001289C: D2890052 00011B03
	s_lshr_b32 s61, s82, 24                                    // 0000000128A4: 8F3D9852
	s_and_b32 s82, s82, 0xffffff                               // 0000000128A8: 8652FF52 00FFFFFF
	s_mul_i32 s82, s82, s71                                    // 0000000128B0: 92524752
	s_mul_i32 s61, s60, s61                                    // 0000000128B4: 923D3D3C
	s_add_u32 s82, s82, s61                                    // 0000000128B8: 80523D52
	v_mul_lo_u32 v7, v4, s82                                   // 0000000128BC: D2850007 0000A504
	v_add_u32_e32 v68, v6, v7                                  // 0000000128C4: 68880F06
	v_readlane_b32 s82, v3, 14                                 // 0000000128C8: D2890052 00011D03
	s_lshr_b32 s61, s82, 24                                    // 0000000128D0: 8F3D9852
	s_and_b32 s82, s82, 0xffffff                               // 0000000128D4: 8652FF52 00FFFFFF
	s_mul_i32 s82, s82, s71                                    // 0000000128DC: 92524752
	s_mul_i32 s61, s60, s61                                    // 0000000128E0: 923D3D3C
	s_add_u32 s82, s82, s61                                    // 0000000128E4: 80523D52
	v_mul_lo_u32 v6, v5, s82                                   // 0000000128E8: D2850006 0000A505
	v_readlane_b32 s82, v3, 15                                 // 0000000128F0: D2890052 00011F03
	s_lshr_b32 s61, s82, 24                                    // 0000000128F8: 8F3D9852
	s_and_b32 s82, s82, 0xffffff                               // 0000000128FC: 8652FF52 00FFFFFF
	s_mul_i32 s82, s82, s71                                    // 000000012904: 92524752
	s_mul_i32 s61, s60, s61                                    // 000000012908: 923D3D3C
	s_add_u32 s82, s82, s61                                    // 00000001290C: 80523D52
	v_mul_lo_u32 v7, v4, s82                                   // 000000012910: D2850007 0000A504
	v_add_u32_e32 v69, v6, v7                                  // 000000012918: 688A0F06
	v_readlane_b32 s82, v3, 16                                 // 00000001291C: D2890052 00012103
	s_lshr_b32 s61, s82, 24                                    // 000000012924: 8F3D9852
	s_and_b32 s82, s82, 0xffffff                               // 000000012928: 8652FF52 00FFFFFF
	s_mul_i32 s82, s82, s71                                    // 000000012930: 92524752
	s_mul_i32 s61, s60, s61                                    // 000000012934: 923D3D3C
	s_add_u32 s82, s82, s61                                    // 000000012938: 80523D52
	v_mul_lo_u32 v6, v5, s82                                   // 00000001293C: D2850006 0000A505
	v_readlane_b32 s82, v3, 17                                 // 000000012944: D2890052 00012303
	s_lshr_b32 s61, s82, 24                                    // 00000001294C: 8F3D9852
	s_and_b32 s82, s82, 0xffffff                               // 000000012950: 8652FF52 00FFFFFF
	s_mul_i32 s82, s82, s71                                    // 000000012958: 92524752
	s_mul_i32 s61, s60, s61                                    // 00000001295C: 923D3D3C
	s_add_u32 s82, s82, s61                                    // 000000012960: 80523D52
	v_mul_lo_u32 v7, v4, s82                                   // 000000012964: D2850007 0000A504
	v_add_u32_e32 v70, v6, v7                                  // 00000001296C: 688C0F06
	v_readlane_b32 s82, v3, 18                                 // 000000012970: D2890052 00012503
	s_lshr_b32 s61, s82, 24                                    // 000000012978: 8F3D9852
	s_and_b32 s82, s82, 0xffffff                               // 00000001297C: 8652FF52 00FFFFFF
	s_mul_i32 s82, s82, s71                                    // 000000012984: 92524752
	s_mul_i32 s61, s60, s61                                    // 000000012988: 923D3D3C
	s_add_u32 s82, s82, s61                                    // 00000001298C: 80523D52
	v_mul_lo_u32 v6, v5, s82                                   // 000000012990: D2850006 0000A505
	v_readlane_b32 s82, v3, 19                                 // 000000012998: D2890052 00012703
	s_lshr_b32 s61, s82, 24                                    // 0000000129A0: 8F3D9852
	s_and_b32 s82, s82, 0xffffff                               // 0000000129A4: 8652FF52 00FFFFFF
	s_mul_i32 s82, s82, s71                                    // 0000000129AC: 92524752
	s_mul_i32 s61, s60, s61                                    // 0000000129B0: 923D3D3C
	s_add_u32 s82, s82, s61                                    // 0000000129B4: 80523D52
	v_mul_lo_u32 v7, v4, s82                                   // 0000000129B8: D2850007 0000A504
	v_add_u32_e32 v71, v6, v7                                  // 0000000129C0: 688E0F06
	v_readlane_b32 s82, v3, 20                                 // 0000000129C4: D2890052 00012903
	s_lshr_b32 s61, s82, 24                                    // 0000000129CC: 8F3D9852
	s_and_b32 s82, s82, 0xffffff                               // 0000000129D0: 8652FF52 00FFFFFF
	s_mul_i32 s82, s82, s71                                    // 0000000129D8: 92524752
	s_mul_i32 s61, s60, s61                                    // 0000000129DC: 923D3D3C
	s_add_u32 s82, s82, s61                                    // 0000000129E0: 80523D52
	v_mul_lo_u32 v6, v5, s82                                   // 0000000129E4: D2850006 0000A505
	v_readlane_b32 s82, v3, 21                                 // 0000000129EC: D2890052 00012B03
	s_lshr_b32 s61, s82, 24                                    // 0000000129F4: 8F3D9852
	s_and_b32 s82, s82, 0xffffff                               // 0000000129F8: 8652FF52 00FFFFFF
	s_mul_i32 s82, s82, s71                                    // 000000012A00: 92524752
	s_mul_i32 s61, s60, s61                                    // 000000012A04: 923D3D3C
	s_add_u32 s82, s82, s61                                    // 000000012A08: 80523D52
	v_mul_lo_u32 v7, v4, s82                                   // 000000012A0C: D2850007 0000A504
	v_add_u32_e32 v72, v6, v7                                  // 000000012A14: 68900F06
	v_readlane_b32 s82, v3, 22                                 // 000000012A18: D2890052 00012D03
	s_lshr_b32 s61, s82, 24                                    // 000000012A20: 8F3D9852
	s_and_b32 s82, s82, 0xffffff                               // 000000012A24: 8652FF52 00FFFFFF
	s_mul_i32 s82, s82, s71                                    // 000000012A2C: 92524752
	s_mul_i32 s61, s60, s61                                    // 000000012A30: 923D3D3C
	s_add_u32 s82, s82, s61                                    // 000000012A34: 80523D52
	v_mul_lo_u32 v6, v5, s82                                   // 000000012A38: D2850006 0000A505
	v_readlane_b32 s82, v3, 23                                 // 000000012A40: D2890052 00012F03
	s_lshr_b32 s61, s82, 24                                    // 000000012A48: 8F3D9852
	s_and_b32 s82, s82, 0xffffff                               // 000000012A4C: 8652FF52 00FFFFFF
	s_mul_i32 s82, s82, s71                                    // 000000012A54: 92524752
	s_mul_i32 s61, s60, s61                                    // 000000012A58: 923D3D3C
	s_add_u32 s82, s82, s61                                    // 000000012A5C: 80523D52
	v_mul_lo_u32 v7, v4, s82                                   // 000000012A60: D2850007 0000A504
	v_add_u32_e32 v73, v6, v7                                  // 000000012A68: 68920F06
	v_readlane_b32 s82, v3, 24                                 // 000000012A6C: D2890052 00013103
	s_lshr_b32 s61, s82, 24                                    // 000000012A74: 8F3D9852
	s_and_b32 s82, s82, 0xffffff                               // 000000012A78: 8652FF52 00FFFFFF
	s_mul_i32 s82, s82, s71                                    // 000000012A80: 92524752
	s_mul_i32 s61, s60, s61                                    // 000000012A84: 923D3D3C
	s_add_u32 s82, s82, s61                                    // 000000012A88: 80523D52
	v_mul_lo_u32 v6, v5, s82                                   // 000000012A8C: D2850006 0000A505
	v_readlane_b32 s82, v3, 25                                 // 000000012A94: D2890052 00013303
	s_lshr_b32 s61, s82, 24                                    // 000000012A9C: 8F3D9852
	s_and_b32 s82, s82, 0xffffff                               // 000000012AA0: 8652FF52 00FFFFFF
	s_mul_i32 s82, s82, s71                                    // 000000012AA8: 92524752
	s_mul_i32 s61, s60, s61                                    // 000000012AAC: 923D3D3C
	s_add_u32 s82, s82, s61                                    // 000000012AB0: 80523D52
	v_mul_lo_u32 v7, v4, s82                                   // 000000012AB4: D2850007 0000A504
	v_add_u32_e32 v74, v6, v7                                  // 000000012ABC: 68940F06
	v_readlane_b32 s82, v3, 26                                 // 000000012AC0: D2890052 00013503
	s_lshr_b32 s61, s82, 24                                    // 000000012AC8: 8F3D9852
	s_and_b32 s82, s82, 0xffffff                               // 000000012ACC: 8652FF52 00FFFFFF
	s_mul_i32 s82, s82, s71                                    // 000000012AD4: 92524752
	s_mul_i32 s61, s60, s61                                    // 000000012AD8: 923D3D3C
	s_add_u32 s82, s82, s61                                    // 000000012ADC: 80523D52
	v_mul_lo_u32 v6, v5, s82                                   // 000000012AE0: D2850006 0000A505
	v_readlane_b32 s82, v3, 27                                 // 000000012AE8: D2890052 00013703
	s_lshr_b32 s61, s82, 24                                    // 000000012AF0: 8F3D9852
	s_and_b32 s82, s82, 0xffffff                               // 000000012AF4: 8652FF52 00FFFFFF
	s_mul_i32 s82, s82, s71                                    // 000000012AFC: 92524752
	s_mul_i32 s61, s60, s61                                    // 000000012B00: 923D3D3C
	s_add_u32 s82, s82, s61                                    // 000000012B04: 80523D52
	v_mul_lo_u32 v7, v4, s82                                   // 000000012B08: D2850007 0000A504
	v_add_u32_e32 v75, v6, v7                                  // 000000012B10: 68960F06
	v_readlane_b32 s82, v3, 28                                 // 000000012B14: D2890052 00013903
	s_lshr_b32 s61, s82, 24                                    // 000000012B1C: 8F3D9852
	s_and_b32 s82, s82, 0xffffff                               // 000000012B20: 8652FF52 00FFFFFF
	s_mul_i32 s82, s82, s71                                    // 000000012B28: 92524752
	s_mul_i32 s61, s60, s61                                    // 000000012B2C: 923D3D3C
	s_add_u32 s82, s82, s61                                    // 000000012B30: 80523D52
	v_mul_lo_u32 v6, v5, s82                                   // 000000012B34: D2850006 0000A505
	v_readlane_b32 s82, v3, 29                                 // 000000012B3C: D2890052 00013B03
	s_lshr_b32 s61, s82, 24                                    // 000000012B44: 8F3D9852
	s_and_b32 s82, s82, 0xffffff                               // 000000012B48: 8652FF52 00FFFFFF
	s_mul_i32 s82, s82, s71                                    // 000000012B50: 92524752
	s_mul_i32 s61, s60, s61                                    // 000000012B54: 923D3D3C
	s_add_u32 s82, s82, s61                                    // 000000012B58: 80523D52
	v_mul_lo_u32 v7, v4, s82                                   // 000000012B5C: D2850007 0000A504
	v_add_u32_e32 v76, v6, v7                                  // 000000012B64: 68980F06
	v_readlane_b32 s82, v3, 30                                 // 000000012B68: D2890052 00013D03
	s_lshr_b32 s61, s82, 24                                    // 000000012B70: 8F3D9852
	s_and_b32 s82, s82, 0xffffff                               // 000000012B74: 8652FF52 00FFFFFF
	s_mul_i32 s82, s82, s71                                    // 000000012B7C: 92524752
	s_mul_i32 s61, s60, s61                                    // 000000012B80: 923D3D3C
	s_add_u32 s82, s82, s61                                    // 000000012B84: 80523D52
	v_mul_lo_u32 v6, v5, s82                                   // 000000012B88: D2850006 0000A505
	v_readlane_b32 s82, v3, 31                                 // 000000012B90: D2890052 00013F03
	s_lshr_b32 s61, s82, 24                                    // 000000012B98: 8F3D9852
	s_and_b32 s82, s82, 0xffffff                               // 000000012B9C: 8652FF52 00FFFFFF
	s_mul_i32 s82, s82, s71                                    // 000000012BA4: 92524752
	s_mul_i32 s61, s60, s61                                    // 000000012BA8: 923D3D3C
	s_add_u32 s82, s82, s61                                    // 000000012BAC: 80523D52
	v_mul_lo_u32 v7, v4, s82                                   // 000000012BB0: D2850007 0000A504
	v_add_u32_e32 v77, v6, v7                                  // 000000012BB8: 689A0F06
	v_and_b32_e32 v4, 31, v0                                   // 000000012BBC: 2608009F
	v_lshrrev_b32_e32 v4, 1, v4                                // 000000012BC0: 20080881
	s_cmp_eq_u32 s88, 0                                        // 000000012BC4: BF068058
	s_cselect_b32 s61, 2, 4                                    // 000000012BC8: 853D8482
	v_mul_lo_u32 v4, v4, s61                                   // 000000012BCC: D2850004 00007B04
	v_and_b32_e64 v5, v0, 1                                    // 000000012BD4: D1130005 00010300
	v_add_u32_e32 v4, v4, v5                                   // 000000012BDC: 68080B04
	v_lshlrev_b32_e32 v4, 2, v4                                // 000000012BE0: 24080882
	v_add_u32_e32 v62, v62, v4                                 // 000000012BE4: 687C093E
	v_add_u32_e32 v63, v63, v4                                 // 000000012BE8: 687E093F
	v_add_u32_e32 v64, v64, v4                                 // 000000012BEC: 68800940
	v_add_u32_e32 v65, v65, v4                                 // 000000012BF0: 68820941
	v_add_u32_e32 v66, v66, v4                                 // 000000012BF4: 68840942
	v_add_u32_e32 v67, v67, v4                                 // 000000012BF8: 68860943
	v_add_u32_e32 v68, v68, v4                                 // 000000012BFC: 68880944
	v_add_u32_e32 v69, v69, v4                                 // 000000012C00: 688A0945
	v_add_u32_e32 v70, v70, v4                                 // 000000012C04: 688C0946
	v_add_u32_e32 v71, v71, v4                                 // 000000012C08: 688E0947
	v_add_u32_e32 v72, v72, v4                                 // 000000012C0C: 68900948
	v_add_u32_e32 v73, v73, v4                                 // 000000012C10: 68920949
	v_add_u32_e32 v74, v74, v4                                 // 000000012C14: 6894094A
	v_add_u32_e32 v75, v75, v4                                 // 000000012C18: 6896094B
	v_add_u32_e32 v76, v76, v4                                 // 000000012C1C: 6898094C
	v_add_u32_e32 v77, v77, v4                                 // 000000012C20: 689A094D
	s_waitcnt lgkmcnt(0)                                       // 000000012C24: BF8CC07F
	s_barrier                                                  // 000000012C28: BF8A0000
	ds_read_b32 v80, v21                                       // 000000012C2C: D86C0000 50000015
	ds_read_b32 v81, v21 offset:64                             // 000000012C34: D86C0040 51000015
	ds_read_b32 v82, v21 offset:2176                           // 000000012C3C: D86C0880 52000015
	ds_read_b32 v83, v21 offset:2240                           // 000000012C44: D86C08C0 53000015
	ds_read_b32 v84, v21 offset:4352                           // 000000012C4C: D86C1100 54000015
	ds_read_b32 v85, v21 offset:4416                           // 000000012C54: D86C1140 55000015
	ds_read_b32 v86, v21 offset:6528                           // 000000012C5C: D86C1980 56000015
	ds_read_b32 v87, v21 offset:6592                           // 000000012C64: D86C19C0 57000015
	ds_read_b32 v88, v21 offset:8704                           // 000000012C6C: D86C2200 58000015
	ds_read_b32 v89, v21 offset:8768                           // 000000012C74: D86C2240 59000015
	ds_read_b32 v90, v21 offset:10880                          // 000000012C7C: D86C2A80 5A000015
	ds_read_b32 v91, v21 offset:10944                          // 000000012C84: D86C2AC0 5B000015
	ds_read_b32 v92, v21 offset:13056                          // 000000012C8C: D86C3300 5C000015
	ds_read_b32 v93, v21 offset:13120                          // 000000012C94: D86C3340 5D000015
	ds_read_b32 v94, v21 offset:15232                          // 000000012C9C: D86C3B80 5E000015
	ds_read_b32 v95, v21 offset:15296                          // 000000012CA4: D86C3BC0 5F000015
	s_waitcnt lgkmcnt(0)                                       // 000000012CAC: BF8CC07F
	s_mov_b32 s36, -1                                          // 000000012CB0: BEA400C1
	s_mov_b32 s37, -1                                          // 000000012CB4: BEA500C1
	v_mov_b32_e32 v7, 0                                        // 000000012CB8: 7E0E0280
	s_or_b32 s9, s9, 0x40000                                   // 000000012CBC: 8709FF09 00040000
	s_mov_b64 exec, s[36:37]                                   // 000000012CC4: BEFE0124
	v_mov_b32_e32 v6, v62                                      // 000000012CC8: 7E0C033E
	s_mov_b64 s[60:61], 0                                      // 000000012CCC: BEBC0180
	v_readlane_b32 s82, v3, 0                                  // 000000012CD0: D2890052 00010103
	s_and_b32 s82, s82, 0xffffff                               // 000000012CD8: 8652FF52 00FFFFFF
	s_cmp_lt_u32 s82, s66                                      // 000000012CE0: BF0A4252
	s_cselect_b32 s20, s36, s60                                // 000000012CE4: 85143C24
	v_readlane_b32 s82, v3, 1                                  // 000000012CE8: D2890052 00010303
	s_and_b32 s82, s82, 0xffffff                               // 000000012CF0: 8652FF52 00FFFFFF
	s_cmp_lt_u32 s82, s66                                      // 000000012CF8: BF0A4252
	s_cselect_b32 s21, s36, s60                                // 000000012CFC: 85153C24
	s_mov_b64 exec, s[20:21]                                   // 000000012D00: BEFE0114
	buffer_store_dword v80, v6, s[8:11], 0 offen               // 000000012D04: E0701000 80025006
	s_mov_b64 exec, s[36:37]                                   // 000000012D0C: BEFE0124
	v_mov_b32_e32 v6, v63                                      // 000000012D10: 7E0C033F
	s_mov_b64 s[60:61], 0                                      // 000000012D14: BEBC0180
	v_readlane_b32 s82, v3, 2                                  // 000000012D18: D2890052 00010503
	s_and_b32 s82, s82, 0xffffff                               // 000000012D20: 8652FF52 00FFFFFF
	s_cmp_lt_u32 s82, s66                                      // 000000012D28: BF0A4252
	s_cselect_b32 s20, s36, s60                                // 000000012D2C: 85143C24
	v_readlane_b32 s82, v3, 3                                  // 000000012D30: D2890052 00010703
	s_and_b32 s82, s82, 0xffffff                               // 000000012D38: 8652FF52 00FFFFFF
	s_cmp_lt_u32 s82, s66                                      // 000000012D40: BF0A4252
	s_cselect_b32 s21, s36, s60                                // 000000012D44: 85153C24
	s_mov_b64 exec, s[20:21]                                   // 000000012D48: BEFE0114
	buffer_store_dword v81, v6, s[8:11], 0 offen               // 000000012D4C: E0701000 80025106
	s_mov_b64 exec, s[36:37]                                   // 000000012D54: BEFE0124
	v_mov_b32_e32 v6, v64                                      // 000000012D58: 7E0C0340
	s_mov_b64 s[60:61], 0                                      // 000000012D5C: BEBC0180
	v_readlane_b32 s82, v3, 4                                  // 000000012D60: D2890052 00010903
	s_and_b32 s82, s82, 0xffffff                               // 000000012D68: 8652FF52 00FFFFFF
	s_cmp_lt_u32 s82, s66                                      // 000000012D70: BF0A4252
	s_cselect_b32 s20, s36, s60                                // 000000012D74: 85143C24
	v_readlane_b32 s82, v3, 5                                  // 000000012D78: D2890052 00010B03
	s_and_b32 s82, s82, 0xffffff                               // 000000012D80: 8652FF52 00FFFFFF
	s_cmp_lt_u32 s82, s66                                      // 000000012D88: BF0A4252
	s_cselect_b32 s21, s36, s60                                // 000000012D8C: 85153C24
	s_mov_b64 exec, s[20:21]                                   // 000000012D90: BEFE0114
	buffer_store_dword v82, v6, s[8:11], 0 offen               // 000000012D94: E0701000 80025206
	s_mov_b64 exec, s[36:37]                                   // 000000012D9C: BEFE0124
	v_mov_b32_e32 v6, v65                                      // 000000012DA0: 7E0C0341
	s_mov_b64 s[60:61], 0                                      // 000000012DA4: BEBC0180
	v_readlane_b32 s82, v3, 6                                  // 000000012DA8: D2890052 00010D03
	s_and_b32 s82, s82, 0xffffff                               // 000000012DB0: 8652FF52 00FFFFFF
	s_cmp_lt_u32 s82, s66                                      // 000000012DB8: BF0A4252
	s_cselect_b32 s20, s36, s60                                // 000000012DBC: 85143C24
	v_readlane_b32 s82, v3, 7                                  // 000000012DC0: D2890052 00010F03
	s_and_b32 s82, s82, 0xffffff                               // 000000012DC8: 8652FF52 00FFFFFF
	s_cmp_lt_u32 s82, s66                                      // 000000012DD0: BF0A4252
	s_cselect_b32 s21, s36, s60                                // 000000012DD4: 85153C24
	s_mov_b64 exec, s[20:21]                                   // 000000012DD8: BEFE0114
	buffer_store_dword v83, v6, s[8:11], 0 offen               // 000000012DDC: E0701000 80025306
	s_mov_b64 exec, s[36:37]                                   // 000000012DE4: BEFE0124
	v_mov_b32_e32 v6, v66                                      // 000000012DE8: 7E0C0342
	s_mov_b64 s[60:61], 0                                      // 000000012DEC: BEBC0180
	v_readlane_b32 s82, v3, 8                                  // 000000012DF0: D2890052 00011103
	s_and_b32 s82, s82, 0xffffff                               // 000000012DF8: 8652FF52 00FFFFFF
	s_cmp_lt_u32 s82, s66                                      // 000000012E00: BF0A4252
	s_cselect_b32 s20, s36, s60                                // 000000012E04: 85143C24
	v_readlane_b32 s82, v3, 9                                  // 000000012E08: D2890052 00011303
	s_and_b32 s82, s82, 0xffffff                               // 000000012E10: 8652FF52 00FFFFFF
	s_cmp_lt_u32 s82, s66                                      // 000000012E18: BF0A4252
	s_cselect_b32 s21, s36, s60                                // 000000012E1C: 85153C24
	s_mov_b64 exec, s[20:21]                                   // 000000012E20: BEFE0114
	buffer_store_dword v84, v6, s[8:11], 0 offen               // 000000012E24: E0701000 80025406
	s_mov_b64 exec, s[36:37]                                   // 000000012E2C: BEFE0124
	v_mov_b32_e32 v6, v67                                      // 000000012E30: 7E0C0343
	s_mov_b64 s[60:61], 0                                      // 000000012E34: BEBC0180
	v_readlane_b32 s82, v3, 10                                 // 000000012E38: D2890052 00011503
	s_and_b32 s82, s82, 0xffffff                               // 000000012E40: 8652FF52 00FFFFFF
	s_cmp_lt_u32 s82, s66                                      // 000000012E48: BF0A4252
	s_cselect_b32 s20, s36, s60                                // 000000012E4C: 85143C24
	v_readlane_b32 s82, v3, 11                                 // 000000012E50: D2890052 00011703
	s_and_b32 s82, s82, 0xffffff                               // 000000012E58: 8652FF52 00FFFFFF
	s_cmp_lt_u32 s82, s66                                      // 000000012E60: BF0A4252
	s_cselect_b32 s21, s36, s60                                // 000000012E64: 85153C24
	s_mov_b64 exec, s[20:21]                                   // 000000012E68: BEFE0114
	buffer_store_dword v85, v6, s[8:11], 0 offen               // 000000012E6C: E0701000 80025506
	s_mov_b64 exec, s[36:37]                                   // 000000012E74: BEFE0124
	v_mov_b32_e32 v6, v68                                      // 000000012E78: 7E0C0344
	s_mov_b64 s[60:61], 0                                      // 000000012E7C: BEBC0180
	v_readlane_b32 s82, v3, 12                                 // 000000012E80: D2890052 00011903
	s_and_b32 s82, s82, 0xffffff                               // 000000012E88: 8652FF52 00FFFFFF
	s_cmp_lt_u32 s82, s66                                      // 000000012E90: BF0A4252
	s_cselect_b32 s20, s36, s60                                // 000000012E94: 85143C24
	v_readlane_b32 s82, v3, 13                                 // 000000012E98: D2890052 00011B03
	s_and_b32 s82, s82, 0xffffff                               // 000000012EA0: 8652FF52 00FFFFFF
	s_cmp_lt_u32 s82, s66                                      // 000000012EA8: BF0A4252
	s_cselect_b32 s21, s36, s60                                // 000000012EAC: 85153C24
	s_mov_b64 exec, s[20:21]                                   // 000000012EB0: BEFE0114
	buffer_store_dword v86, v6, s[8:11], 0 offen               // 000000012EB4: E0701000 80025606
	s_mov_b64 exec, s[36:37]                                   // 000000012EBC: BEFE0124
	v_mov_b32_e32 v6, v69                                      // 000000012EC0: 7E0C0345
	s_mov_b64 s[60:61], 0                                      // 000000012EC4: BEBC0180
	v_readlane_b32 s82, v3, 14                                 // 000000012EC8: D2890052 00011D03
	s_and_b32 s82, s82, 0xffffff                               // 000000012ED0: 8652FF52 00FFFFFF
	s_cmp_lt_u32 s82, s66                                      // 000000012ED8: BF0A4252
	s_cselect_b32 s20, s36, s60                                // 000000012EDC: 85143C24
	v_readlane_b32 s82, v3, 15                                 // 000000012EE0: D2890052 00011F03
	s_and_b32 s82, s82, 0xffffff                               // 000000012EE8: 8652FF52 00FFFFFF
	s_cmp_lt_u32 s82, s66                                      // 000000012EF0: BF0A4252
	s_cselect_b32 s21, s36, s60                                // 000000012EF4: 85153C24
	s_mov_b64 exec, s[20:21]                                   // 000000012EF8: BEFE0114
	buffer_store_dword v87, v6, s[8:11], 0 offen               // 000000012EFC: E0701000 80025706
	s_mov_b64 exec, s[36:37]                                   // 000000012F04: BEFE0124
	v_mov_b32_e32 v6, v70                                      // 000000012F08: 7E0C0346
	s_mov_b64 s[60:61], 0                                      // 000000012F0C: BEBC0180
	v_readlane_b32 s82, v3, 16                                 // 000000012F10: D2890052 00012103
	s_and_b32 s82, s82, 0xffffff                               // 000000012F18: 8652FF52 00FFFFFF
	s_cmp_lt_u32 s82, s66                                      // 000000012F20: BF0A4252
	s_cselect_b32 s20, s36, s60                                // 000000012F24: 85143C24
	v_readlane_b32 s82, v3, 17                                 // 000000012F28: D2890052 00012303
	s_and_b32 s82, s82, 0xffffff                               // 000000012F30: 8652FF52 00FFFFFF
	s_cmp_lt_u32 s82, s66                                      // 000000012F38: BF0A4252
	s_cselect_b32 s21, s36, s60                                // 000000012F3C: 85153C24
	s_mov_b64 exec, s[20:21]                                   // 000000012F40: BEFE0114
	buffer_store_dword v88, v6, s[8:11], 0 offen               // 000000012F44: E0701000 80025806
	s_mov_b64 exec, s[36:37]                                   // 000000012F4C: BEFE0124
	v_mov_b32_e32 v6, v71                                      // 000000012F50: 7E0C0347
	s_mov_b64 s[60:61], 0                                      // 000000012F54: BEBC0180
	v_readlane_b32 s82, v3, 18                                 // 000000012F58: D2890052 00012503
	s_and_b32 s82, s82, 0xffffff                               // 000000012F60: 8652FF52 00FFFFFF
	s_cmp_lt_u32 s82, s66                                      // 000000012F68: BF0A4252
	s_cselect_b32 s20, s36, s60                                // 000000012F6C: 85143C24
	v_readlane_b32 s82, v3, 19                                 // 000000012F70: D2890052 00012703
	s_and_b32 s82, s82, 0xffffff                               // 000000012F78: 8652FF52 00FFFFFF
	s_cmp_lt_u32 s82, s66                                      // 000000012F80: BF0A4252
	s_cselect_b32 s21, s36, s60                                // 000000012F84: 85153C24
	s_mov_b64 exec, s[20:21]                                   // 000000012F88: BEFE0114
	buffer_store_dword v89, v6, s[8:11], 0 offen               // 000000012F8C: E0701000 80025906
	s_mov_b64 exec, s[36:37]                                   // 000000012F94: BEFE0124
	v_mov_b32_e32 v6, v72                                      // 000000012F98: 7E0C0348
	s_mov_b64 s[60:61], 0                                      // 000000012F9C: BEBC0180
	v_readlane_b32 s82, v3, 20                                 // 000000012FA0: D2890052 00012903
	s_and_b32 s82, s82, 0xffffff                               // 000000012FA8: 8652FF52 00FFFFFF
	s_cmp_lt_u32 s82, s66                                      // 000000012FB0: BF0A4252
	s_cselect_b32 s20, s36, s60                                // 000000012FB4: 85143C24
	v_readlane_b32 s82, v3, 21                                 // 000000012FB8: D2890052 00012B03
	s_and_b32 s82, s82, 0xffffff                               // 000000012FC0: 8652FF52 00FFFFFF
	s_cmp_lt_u32 s82, s66                                      // 000000012FC8: BF0A4252
	s_cselect_b32 s21, s36, s60                                // 000000012FCC: 85153C24
	s_mov_b64 exec, s[20:21]                                   // 000000012FD0: BEFE0114
	buffer_store_dword v90, v6, s[8:11], 0 offen               // 000000012FD4: E0701000 80025A06
	s_mov_b64 exec, s[36:37]                                   // 000000012FDC: BEFE0124
	v_mov_b32_e32 v6, v73                                      // 000000012FE0: 7E0C0349
	s_mov_b64 s[60:61], 0                                      // 000000012FE4: BEBC0180
	v_readlane_b32 s82, v3, 22                                 // 000000012FE8: D2890052 00012D03
	s_and_b32 s82, s82, 0xffffff                               // 000000012FF0: 8652FF52 00FFFFFF
	s_cmp_lt_u32 s82, s66                                      // 000000012FF8: BF0A4252
	s_cselect_b32 s20, s36, s60                                // 000000012FFC: 85143C24
	v_readlane_b32 s82, v3, 23                                 // 000000013000: D2890052 00012F03
	s_and_b32 s82, s82, 0xffffff                               // 000000013008: 8652FF52 00FFFFFF
	s_cmp_lt_u32 s82, s66                                      // 000000013010: BF0A4252
	s_cselect_b32 s21, s36, s60                                // 000000013014: 85153C24
	s_mov_b64 exec, s[20:21]                                   // 000000013018: BEFE0114
	buffer_store_dword v91, v6, s[8:11], 0 offen               // 00000001301C: E0701000 80025B06
	s_mov_b64 exec, s[36:37]                                   // 000000013024: BEFE0124
	v_mov_b32_e32 v6, v74                                      // 000000013028: 7E0C034A
	s_mov_b64 s[60:61], 0                                      // 00000001302C: BEBC0180
	v_readlane_b32 s82, v3, 24                                 // 000000013030: D2890052 00013103
	s_and_b32 s82, s82, 0xffffff                               // 000000013038: 8652FF52 00FFFFFF
	s_cmp_lt_u32 s82, s66                                      // 000000013040: BF0A4252
	s_cselect_b32 s20, s36, s60                                // 000000013044: 85143C24
	v_readlane_b32 s82, v3, 25                                 // 000000013048: D2890052 00013303
	s_and_b32 s82, s82, 0xffffff                               // 000000013050: 8652FF52 00FFFFFF
	s_cmp_lt_u32 s82, s66                                      // 000000013058: BF0A4252
	s_cselect_b32 s21, s36, s60                                // 00000001305C: 85153C24
	s_mov_b64 exec, s[20:21]                                   // 000000013060: BEFE0114
	buffer_store_dword v92, v6, s[8:11], 0 offen               // 000000013064: E0701000 80025C06
	s_mov_b64 exec, s[36:37]                                   // 00000001306C: BEFE0124
	v_mov_b32_e32 v6, v75                                      // 000000013070: 7E0C034B
	s_mov_b64 s[60:61], 0                                      // 000000013074: BEBC0180
	v_readlane_b32 s82, v3, 26                                 // 000000013078: D2890052 00013503
	s_and_b32 s82, s82, 0xffffff                               // 000000013080: 8652FF52 00FFFFFF
	s_cmp_lt_u32 s82, s66                                      // 000000013088: BF0A4252
	s_cselect_b32 s20, s36, s60                                // 00000001308C: 85143C24
	v_readlane_b32 s82, v3, 27                                 // 000000013090: D2890052 00013703
	s_and_b32 s82, s82, 0xffffff                               // 000000013098: 8652FF52 00FFFFFF
	s_cmp_lt_u32 s82, s66                                      // 0000000130A0: BF0A4252
	s_cselect_b32 s21, s36, s60                                // 0000000130A4: 85153C24
	s_mov_b64 exec, s[20:21]                                   // 0000000130A8: BEFE0114
	buffer_store_dword v93, v6, s[8:11], 0 offen               // 0000000130AC: E0701000 80025D06
	s_mov_b64 exec, s[36:37]                                   // 0000000130B4: BEFE0124
	v_mov_b32_e32 v6, v76                                      // 0000000130B8: 7E0C034C
	s_mov_b64 s[60:61], 0                                      // 0000000130BC: BEBC0180
	v_readlane_b32 s82, v3, 28                                 // 0000000130C0: D2890052 00013903
	s_and_b32 s82, s82, 0xffffff                               // 0000000130C8: 8652FF52 00FFFFFF
	s_cmp_lt_u32 s82, s66                                      // 0000000130D0: BF0A4252
	s_cselect_b32 s20, s36, s60                                // 0000000130D4: 85143C24
	v_readlane_b32 s82, v3, 29                                 // 0000000130D8: D2890052 00013B03
	s_and_b32 s82, s82, 0xffffff                               // 0000000130E0: 8652FF52 00FFFFFF
	s_cmp_lt_u32 s82, s66                                      // 0000000130E8: BF0A4252
	s_cselect_b32 s21, s36, s60                                // 0000000130EC: 85153C24
	s_mov_b64 exec, s[20:21]                                   // 0000000130F0: BEFE0114
	buffer_store_dword v94, v6, s[8:11], 0 offen               // 0000000130F4: E0701000 80025E06
	s_mov_b64 exec, s[36:37]                                   // 0000000130FC: BEFE0124
	v_mov_b32_e32 v6, v77                                      // 000000013100: 7E0C034D
	s_mov_b64 s[60:61], 0                                      // 000000013104: BEBC0180
	v_readlane_b32 s82, v3, 30                                 // 000000013108: D2890052 00013D03
	s_and_b32 s82, s82, 0xffffff                               // 000000013110: 8652FF52 00FFFFFF
	s_cmp_lt_u32 s82, s66                                      // 000000013118: BF0A4252
	s_cselect_b32 s20, s36, s60                                // 00000001311C: 85143C24
	v_readlane_b32 s82, v3, 31                                 // 000000013120: D2890052 00013F03
	s_and_b32 s82, s82, 0xffffff                               // 000000013128: 8652FF52 00FFFFFF
	s_cmp_lt_u32 s82, s66                                      // 000000013130: BF0A4252
	s_cselect_b32 s21, s36, s60                                // 000000013134: 85153C24
	s_mov_b64 exec, s[20:21]                                   // 000000013138: BEFE0114
	buffer_store_dword v95, v6, s[8:11], 0 offen               // 00000001313C: E0701000 80025F06
	s_mov_b64 exec, s[36:37]                                   // 000000013144: BEFE0124
	s_cmp_eq_u32 s7, 0                                         // 000000013148: BF068007
	s_cbranch_scc0 label_4A48                                  // 00000001314C: BF840871
	s_waitcnt vmcnt(16)                                        // 000000013150: BF8C4F70
	s_mov_b32 s8, s90                                          // 000000013154: BE88005A
	s_mov_b32 s9, s91                                          // 000000013158: BE89005B
	s_mul_i32 s60, s66, s71                                    // 00000001315C: 923C4742
	s_add_u32 s8, s60, s8                                      // 000000013160: 8008083C
	s_addc_u32 s9, 0, s9                                       // 000000013164: 82090980
	s_lshr_b32 s71, s71, 5                                     // 000000013168: 8F478547
	s_mul_i32 s60, s66, s71                                    // 00000001316C: 923C4742
	s_mov_b32 s10, s60                                         // 000000013170: BE8A003C
	s_lshr_b32 s61, s65, 5                                     // 000000013174: 8F3D8541
	s_mul_i32 s60, s2, 4                                       // 000000013178: 923C8402
	v_lshrrev_b32_e32 v4, 24, v30                              // 00000001317C: 20083C98
	v_mul_lo_u32 v4, s61, v4                                   // 000000013180: D2850004 0002083D
	v_and_b32_e32 v30, 0xffffff, v30                           // 000000013188: 263C3CFF 00FFFFFF
	v_mul_lo_u32 v30, s71, v30                                 // 000000013190: D285001E 00023C47
	v_add_u32_e32 v30, v4, v30                                 // 000000013198: 683C3D04
	v_add_u32_e32 v30, s60, v30                                // 00000001319C: 683C3C3C
	v_lshrrev_b32_e32 v4, 24, v31                              // 0000000131A0: 20083E98
	v_mul_lo_u32 v4, s61, v4                                   // 0000000131A4: D2850004 0002083D
	v_and_b32_e32 v31, 0xffffff, v31                           // 0000000131AC: 263E3EFF 00FFFFFF
	v_mul_lo_u32 v31, s71, v31                                 // 0000000131B4: D285001F 00023E47
	v_add_u32_e32 v31, v4, v31                                 // 0000000131BC: 683E3F04
	v_add_u32_e32 v31, s60, v31                                // 0000000131C0: 683E3E3C
	v_lshrrev_b32_e32 v4, 24, v32                              // 0000000131C4: 20084098
	v_mul_lo_u32 v4, s61, v4                                   // 0000000131C8: D2850004 0002083D
	v_and_b32_e32 v32, 0xffffff, v32                           // 0000000131D0: 264040FF 00FFFFFF
	v_mul_lo_u32 v32, s71, v32                                 // 0000000131D8: D2850020 00024047
	v_add_u32_e32 v32, v4, v32                                 // 0000000131E0: 68404104
	v_add_u32_e32 v32, s60, v32                                // 0000000131E4: 6840403C
	v_lshrrev_b32_e32 v4, 24, v33                              // 0000000131E8: 20084298
	v_mul_lo_u32 v4, s61, v4                                   // 0000000131EC: D2850004 0002083D
	v_and_b32_e32 v33, 0xffffff, v33                           // 0000000131F4: 264242FF 00FFFFFF
	v_mul_lo_u32 v33, s71, v33                                 // 0000000131FC: D2850021 00024247
	v_add_u32_e32 v33, v4, v33                                 // 000000013204: 68424304
	v_add_u32_e32 v33, s60, v33                                // 000000013208: 6842423C
	v_lshrrev_b32_e32 v4, 24, v34                              // 00000001320C: 20084498
	v_mul_lo_u32 v4, s61, v4                                   // 000000013210: D2850004 0002083D
	v_and_b32_e32 v34, 0xffffff, v34                           // 000000013218: 264444FF 00FFFFFF
	v_mul_lo_u32 v34, s71, v34                                 // 000000013220: D2850022 00024447
	v_add_u32_e32 v34, v4, v34                                 // 000000013228: 68444504
	v_add_u32_e32 v34, s60, v34                                // 00000001322C: 6844443C
	v_lshrrev_b32_e32 v4, 24, v35                              // 000000013230: 20084698
	v_mul_lo_u32 v4, s61, v4                                   // 000000013234: D2850004 0002083D
	v_and_b32_e32 v35, 0xffffff, v35                           // 00000001323C: 264646FF 00FFFFFF
	v_mul_lo_u32 v35, s71, v35                                 // 000000013244: D2850023 00024647
	v_add_u32_e32 v35, v4, v35                                 // 00000001324C: 68464704
	v_add_u32_e32 v35, s60, v35                                // 000000013250: 6846463C
	v_lshrrev_b32_e32 v4, 24, v36                              // 000000013254: 20084898
	v_mul_lo_u32 v4, s61, v4                                   // 000000013258: D2850004 0002083D
	v_and_b32_e32 v36, 0xffffff, v36                           // 000000013260: 264848FF 00FFFFFF
	v_mul_lo_u32 v36, s71, v36                                 // 000000013268: D2850024 00024847
	v_add_u32_e32 v36, v4, v36                                 // 000000013270: 68484904
	v_add_u32_e32 v36, s60, v36                                // 000000013274: 6848483C
	v_lshrrev_b32_e32 v4, 24, v37                              // 000000013278: 20084A98
	v_mul_lo_u32 v4, s61, v4                                   // 00000001327C: D2850004 0002083D
	v_and_b32_e32 v37, 0xffffff, v37                           // 000000013284: 264A4AFF 00FFFFFF
	v_mul_lo_u32 v37, s71, v37                                 // 00000001328C: D2850025 00024A47
	v_add_u32_e32 v37, v4, v37                                 // 000000013294: 684A4B04
	v_add_u32_e32 v37, s60, v37                                // 000000013298: 684A4A3C
	s_mov_b64 exec, 0xffff                                     // 00000001329C: BEFE01FF 0000FFFF
	buffer_store_dword v144, v30, s[8:11], 0 offen             // 0000000132A4: E0701000 8002901E
	buffer_store_dword v145, v31, s[8:11], 0 offen             // 0000000132AC: E0701000 8002911F
	buffer_store_dword v146, v32, s[8:11], 0 offen             // 0000000132B4: E0701000 80029220
	buffer_store_dword v147, v33, s[8:11], 0 offen             // 0000000132BC: E0701000 80029321
	buffer_store_dword v148, v34, s[8:11], 0 offen             // 0000000132C4: E0701000 80029422
	buffer_store_dword v149, v35, s[8:11], 0 offen             // 0000000132CC: E0701000 80029523
	buffer_store_dword v150, v36, s[8:11], 0 offen             // 0000000132D4: E0701000 80029624
	buffer_store_dword v151, v37, s[8:11], 0 offen             // 0000000132DC: E0701000 80029725
	s_mov_b64 exec, s[36:37]                                   // 0000000132E4: BEFE0124
	s_branch label_4A48                                        // 0000000132E8: BF82080A

00000000000132ec <label_423E>:
	ds_write_b64 v20, v[80:81]                                 // 0000000132EC: D89A0000 00005014
	ds_write_b64 v20, v[84:85] offset:4352                     // 0000000132F4: D89A1100 00005414
	ds_write_b64 v20, v[88:89] offset:8704                     // 0000000132FC: D89A2200 00005814
	ds_write_b64 v20, v[92:93] offset:13056                    // 000000013304: D89A3300 00005C14
	ds_write_b64 v20, v[96:97] offset:17408                    // 00000001330C: D89A4400 00006014
	ds_write_b64 v20, v[100:101] offset:21760                  // 000000013314: D89A5500 00006414
	ds_write_b64 v20, v[104:105] offset:26112                  // 00000001331C: D89A6600 00006814
	ds_write_b64 v20, v[108:109] offset:30464                  // 000000013324: D89A7700 00006C14
	ds_write_b64 v20, v[112:113] offset:2176                   // 00000001332C: D89A0880 00007014
	ds_write_b64 v20, v[116:117] offset:6528                   // 000000013334: D89A1980 00007414
	ds_write_b64 v20, v[120:121] offset:10880                  // 00000001333C: D89A2A80 00007814
	ds_write_b64 v20, v[124:125] offset:15232                  // 000000013344: D89A3B80 00007C14
	ds_write_b64 v20, v[128:129] offset:19584                  // 00000001334C: D89A4C80 00008014
	ds_write_b64 v20, v[132:133] offset:23936                  // 000000013354: D89A5D80 00008414
	ds_write_b64 v20, v[136:137] offset:28288                  // 00000001335C: D89A6E80 00008814
	ds_write_b64 v20, v[140:141] offset:32640                  // 000000013364: D89A7F80 00008C14
	v_lshrrev_b32_e32 v4, 5, v0                                // 00000001336C: 20080085
	v_xor_b32_e32 v5, 1, v4                                    // 000000013370: 2A0A0881
	s_mul_i32 s60, s65, 1                                      // 000000013374: 923C8141
	s_cmp_eq_u32 s88, 0                                        // 000000013378: BF068058
	s_cselect_b32 s61, 1, 8                                    // 00000001337C: 853D8881
	s_mul_i32 s60, s61, s60                                    // 000000013380: 923C3C3D
	v_readlane_b32 s82, v3, 0                                  // 000000013384: D2890052 00010103
	s_lshr_b32 s61, s82, 24                                    // 00000001338C: 8F3D9852
	s_and_b32 s82, s82, 0xffffff                               // 000000013390: 8652FF52 00FFFFFF
	s_mul_i32 s82, s82, s71                                    // 000000013398: 92524752
	s_mul_i32 s61, s60, s61                                    // 00000001339C: 923D3D3C
	s_add_u32 s82, s82, s61                                    // 0000000133A0: 80523D52
	v_mul_lo_u32 v6, v5, s82                                   // 0000000133A4: D2850006 0000A505
	v_readlane_b32 s82, v3, 1                                  // 0000000133AC: D2890052 00010303
	s_lshr_b32 s61, s82, 24                                    // 0000000133B4: 8F3D9852
	s_and_b32 s82, s82, 0xffffff                               // 0000000133B8: 8652FF52 00FFFFFF
	s_mul_i32 s82, s82, s71                                    // 0000000133C0: 92524752
	s_mul_i32 s61, s60, s61                                    // 0000000133C4: 923D3D3C
	s_add_u32 s82, s82, s61                                    // 0000000133C8: 80523D52
	v_mul_lo_u32 v7, v4, s82                                   // 0000000133CC: D2850007 0000A504
	v_add_u32_e32 v62, v6, v7                                  // 0000000133D4: 687C0F06
	v_readlane_b32 s82, v3, 2                                  // 0000000133D8: D2890052 00010503
	s_lshr_b32 s61, s82, 24                                    // 0000000133E0: 8F3D9852
	s_and_b32 s82, s82, 0xffffff                               // 0000000133E4: 8652FF52 00FFFFFF
	s_mul_i32 s82, s82, s71                                    // 0000000133EC: 92524752
	s_mul_i32 s61, s60, s61                                    // 0000000133F0: 923D3D3C
	s_add_u32 s82, s82, s61                                    // 0000000133F4: 80523D52
	v_mul_lo_u32 v6, v5, s82                                   // 0000000133F8: D2850006 0000A505
	v_readlane_b32 s82, v3, 3                                  // 000000013400: D2890052 00010703
	s_lshr_b32 s61, s82, 24                                    // 000000013408: 8F3D9852
	s_and_b32 s82, s82, 0xffffff                               // 00000001340C: 8652FF52 00FFFFFF
	s_mul_i32 s82, s82, s71                                    // 000000013414: 92524752
	s_mul_i32 s61, s60, s61                                    // 000000013418: 923D3D3C
	s_add_u32 s82, s82, s61                                    // 00000001341C: 80523D52
	v_mul_lo_u32 v7, v4, s82                                   // 000000013420: D2850007 0000A504
	v_add_u32_e32 v63, v6, v7                                  // 000000013428: 687E0F06
	v_readlane_b32 s82, v3, 4                                  // 00000001342C: D2890052 00010903
	s_lshr_b32 s61, s82, 24                                    // 000000013434: 8F3D9852
	s_and_b32 s82, s82, 0xffffff                               // 000000013438: 8652FF52 00FFFFFF
	s_mul_i32 s82, s82, s71                                    // 000000013440: 92524752
	s_mul_i32 s61, s60, s61                                    // 000000013444: 923D3D3C
	s_add_u32 s82, s82, s61                                    // 000000013448: 80523D52
	v_mul_lo_u32 v6, v5, s82                                   // 00000001344C: D2850006 0000A505
	v_readlane_b32 s82, v3, 5                                  // 000000013454: D2890052 00010B03
	s_lshr_b32 s61, s82, 24                                    // 00000001345C: 8F3D9852
	s_and_b32 s82, s82, 0xffffff                               // 000000013460: 8652FF52 00FFFFFF
	s_mul_i32 s82, s82, s71                                    // 000000013468: 92524752
	s_mul_i32 s61, s60, s61                                    // 00000001346C: 923D3D3C
	s_add_u32 s82, s82, s61                                    // 000000013470: 80523D52
	v_mul_lo_u32 v7, v4, s82                                   // 000000013474: D2850007 0000A504
	v_add_u32_e32 v64, v6, v7                                  // 00000001347C: 68800F06
	v_readlane_b32 s82, v3, 6                                  // 000000013480: D2890052 00010D03
	s_lshr_b32 s61, s82, 24                                    // 000000013488: 8F3D9852
	s_and_b32 s82, s82, 0xffffff                               // 00000001348C: 8652FF52 00FFFFFF
	s_mul_i32 s82, s82, s71                                    // 000000013494: 92524752
	s_mul_i32 s61, s60, s61                                    // 000000013498: 923D3D3C
	s_add_u32 s82, s82, s61                                    // 00000001349C: 80523D52
	v_mul_lo_u32 v6, v5, s82                                   // 0000000134A0: D2850006 0000A505
	v_readlane_b32 s82, v3, 7                                  // 0000000134A8: D2890052 00010F03
	s_lshr_b32 s61, s82, 24                                    // 0000000134B0: 8F3D9852
	s_and_b32 s82, s82, 0xffffff                               // 0000000134B4: 8652FF52 00FFFFFF
	s_mul_i32 s82, s82, s71                                    // 0000000134BC: 92524752
	s_mul_i32 s61, s60, s61                                    // 0000000134C0: 923D3D3C
	s_add_u32 s82, s82, s61                                    // 0000000134C4: 80523D52
	v_mul_lo_u32 v7, v4, s82                                   // 0000000134C8: D2850007 0000A504
	v_add_u32_e32 v65, v6, v7                                  // 0000000134D0: 68820F06
	v_readlane_b32 s82, v3, 8                                  // 0000000134D4: D2890052 00011103
	s_lshr_b32 s61, s82, 24                                    // 0000000134DC: 8F3D9852
	s_and_b32 s82, s82, 0xffffff                               // 0000000134E0: 8652FF52 00FFFFFF
	s_mul_i32 s82, s82, s71                                    // 0000000134E8: 92524752
	s_mul_i32 s61, s60, s61                                    // 0000000134EC: 923D3D3C
	s_add_u32 s82, s82, s61                                    // 0000000134F0: 80523D52
	v_mul_lo_u32 v6, v5, s82                                   // 0000000134F4: D2850006 0000A505
	v_readlane_b32 s82, v3, 9                                  // 0000000134FC: D2890052 00011303
	s_lshr_b32 s61, s82, 24                                    // 000000013504: 8F3D9852
	s_and_b32 s82, s82, 0xffffff                               // 000000013508: 8652FF52 00FFFFFF
	s_mul_i32 s82, s82, s71                                    // 000000013510: 92524752
	s_mul_i32 s61, s60, s61                                    // 000000013514: 923D3D3C
	s_add_u32 s82, s82, s61                                    // 000000013518: 80523D52
	v_mul_lo_u32 v7, v4, s82                                   // 00000001351C: D2850007 0000A504
	v_add_u32_e32 v66, v6, v7                                  // 000000013524: 68840F06
	v_readlane_b32 s82, v3, 10                                 // 000000013528: D2890052 00011503
	s_lshr_b32 s61, s82, 24                                    // 000000013530: 8F3D9852
	s_and_b32 s82, s82, 0xffffff                               // 000000013534: 8652FF52 00FFFFFF
	s_mul_i32 s82, s82, s71                                    // 00000001353C: 92524752
	s_mul_i32 s61, s60, s61                                    // 000000013540: 923D3D3C
	s_add_u32 s82, s82, s61                                    // 000000013544: 80523D52
	v_mul_lo_u32 v6, v5, s82                                   // 000000013548: D2850006 0000A505
	v_readlane_b32 s82, v3, 11                                 // 000000013550: D2890052 00011703
	s_lshr_b32 s61, s82, 24                                    // 000000013558: 8F3D9852
	s_and_b32 s82, s82, 0xffffff                               // 00000001355C: 8652FF52 00FFFFFF
	s_mul_i32 s82, s82, s71                                    // 000000013564: 92524752
	s_mul_i32 s61, s60, s61                                    // 000000013568: 923D3D3C
	s_add_u32 s82, s82, s61                                    // 00000001356C: 80523D52
	v_mul_lo_u32 v7, v4, s82                                   // 000000013570: D2850007 0000A504
	v_add_u32_e32 v67, v6, v7                                  // 000000013578: 68860F06
	v_readlane_b32 s82, v3, 12                                 // 00000001357C: D2890052 00011903
	s_lshr_b32 s61, s82, 24                                    // 000000013584: 8F3D9852
	s_and_b32 s82, s82, 0xffffff                               // 000000013588: 8652FF52 00FFFFFF
	s_mul_i32 s82, s82, s71                                    // 000000013590: 92524752
	s_mul_i32 s61, s60, s61                                    // 000000013594: 923D3D3C
	s_add_u32 s82, s82, s61                                    // 000000013598: 80523D52
	v_mul_lo_u32 v6, v5, s82                                   // 00000001359C: D2850006 0000A505
	v_readlane_b32 s82, v3, 13                                 // 0000000135A4: D2890052 00011B03
	s_lshr_b32 s61, s82, 24                                    // 0000000135AC: 8F3D9852
	s_and_b32 s82, s82, 0xffffff                               // 0000000135B0: 8652FF52 00FFFFFF
	s_mul_i32 s82, s82, s71                                    // 0000000135B8: 92524752
	s_mul_i32 s61, s60, s61                                    // 0000000135BC: 923D3D3C
	s_add_u32 s82, s82, s61                                    // 0000000135C0: 80523D52
	v_mul_lo_u32 v7, v4, s82                                   // 0000000135C4: D2850007 0000A504
	v_add_u32_e32 v68, v6, v7                                  // 0000000135CC: 68880F06
	v_readlane_b32 s82, v3, 14                                 // 0000000135D0: D2890052 00011D03
	s_lshr_b32 s61, s82, 24                                    // 0000000135D8: 8F3D9852
	s_and_b32 s82, s82, 0xffffff                               // 0000000135DC: 8652FF52 00FFFFFF
	s_mul_i32 s82, s82, s71                                    // 0000000135E4: 92524752
	s_mul_i32 s61, s60, s61                                    // 0000000135E8: 923D3D3C
	s_add_u32 s82, s82, s61                                    // 0000000135EC: 80523D52
	v_mul_lo_u32 v6, v5, s82                                   // 0000000135F0: D2850006 0000A505
	v_readlane_b32 s82, v3, 15                                 // 0000000135F8: D2890052 00011F03
	s_lshr_b32 s61, s82, 24                                    // 000000013600: 8F3D9852
	s_and_b32 s82, s82, 0xffffff                               // 000000013604: 8652FF52 00FFFFFF
	s_mul_i32 s82, s82, s71                                    // 00000001360C: 92524752
	s_mul_i32 s61, s60, s61                                    // 000000013610: 923D3D3C
	s_add_u32 s82, s82, s61                                    // 000000013614: 80523D52
	v_mul_lo_u32 v7, v4, s82                                   // 000000013618: D2850007 0000A504
	v_add_u32_e32 v69, v6, v7                                  // 000000013620: 688A0F06
	v_readlane_b32 s82, v3, 16                                 // 000000013624: D2890052 00012103
	s_lshr_b32 s61, s82, 24                                    // 00000001362C: 8F3D9852
	s_and_b32 s82, s82, 0xffffff                               // 000000013630: 8652FF52 00FFFFFF
	s_mul_i32 s82, s82, s71                                    // 000000013638: 92524752
	s_mul_i32 s61, s60, s61                                    // 00000001363C: 923D3D3C
	s_add_u32 s82, s82, s61                                    // 000000013640: 80523D52
	v_mul_lo_u32 v6, v5, s82                                   // 000000013644: D2850006 0000A505
	v_readlane_b32 s82, v3, 17                                 // 00000001364C: D2890052 00012303
	s_lshr_b32 s61, s82, 24                                    // 000000013654: 8F3D9852
	s_and_b32 s82, s82, 0xffffff                               // 000000013658: 8652FF52 00FFFFFF
	s_mul_i32 s82, s82, s71                                    // 000000013660: 92524752
	s_mul_i32 s61, s60, s61                                    // 000000013664: 923D3D3C
	s_add_u32 s82, s82, s61                                    // 000000013668: 80523D52
	v_mul_lo_u32 v7, v4, s82                                   // 00000001366C: D2850007 0000A504
	v_add_u32_e32 v70, v6, v7                                  // 000000013674: 688C0F06
	v_readlane_b32 s82, v3, 18                                 // 000000013678: D2890052 00012503
	s_lshr_b32 s61, s82, 24                                    // 000000013680: 8F3D9852
	s_and_b32 s82, s82, 0xffffff                               // 000000013684: 8652FF52 00FFFFFF
	s_mul_i32 s82, s82, s71                                    // 00000001368C: 92524752
	s_mul_i32 s61, s60, s61                                    // 000000013690: 923D3D3C
	s_add_u32 s82, s82, s61                                    // 000000013694: 80523D52
	v_mul_lo_u32 v6, v5, s82                                   // 000000013698: D2850006 0000A505
	v_readlane_b32 s82, v3, 19                                 // 0000000136A0: D2890052 00012703
	s_lshr_b32 s61, s82, 24                                    // 0000000136A8: 8F3D9852
	s_and_b32 s82, s82, 0xffffff                               // 0000000136AC: 8652FF52 00FFFFFF
	s_mul_i32 s82, s82, s71                                    // 0000000136B4: 92524752
	s_mul_i32 s61, s60, s61                                    // 0000000136B8: 923D3D3C
	s_add_u32 s82, s82, s61                                    // 0000000136BC: 80523D52
	v_mul_lo_u32 v7, v4, s82                                   // 0000000136C0: D2850007 0000A504
	v_add_u32_e32 v71, v6, v7                                  // 0000000136C8: 688E0F06
	v_readlane_b32 s82, v3, 20                                 // 0000000136CC: D2890052 00012903
	s_lshr_b32 s61, s82, 24                                    // 0000000136D4: 8F3D9852
	s_and_b32 s82, s82, 0xffffff                               // 0000000136D8: 8652FF52 00FFFFFF
	s_mul_i32 s82, s82, s71                                    // 0000000136E0: 92524752
	s_mul_i32 s61, s60, s61                                    // 0000000136E4: 923D3D3C
	s_add_u32 s82, s82, s61                                    // 0000000136E8: 80523D52
	v_mul_lo_u32 v6, v5, s82                                   // 0000000136EC: D2850006 0000A505
	v_readlane_b32 s82, v3, 21                                 // 0000000136F4: D2890052 00012B03
	s_lshr_b32 s61, s82, 24                                    // 0000000136FC: 8F3D9852
	s_and_b32 s82, s82, 0xffffff                               // 000000013700: 8652FF52 00FFFFFF
	s_mul_i32 s82, s82, s71                                    // 000000013708: 92524752
	s_mul_i32 s61, s60, s61                                    // 00000001370C: 923D3D3C
	s_add_u32 s82, s82, s61                                    // 000000013710: 80523D52
	v_mul_lo_u32 v7, v4, s82                                   // 000000013714: D2850007 0000A504
	v_add_u32_e32 v72, v6, v7                                  // 00000001371C: 68900F06
	v_readlane_b32 s82, v3, 22                                 // 000000013720: D2890052 00012D03
	s_lshr_b32 s61, s82, 24                                    // 000000013728: 8F3D9852
	s_and_b32 s82, s82, 0xffffff                               // 00000001372C: 8652FF52 00FFFFFF
	s_mul_i32 s82, s82, s71                                    // 000000013734: 92524752
	s_mul_i32 s61, s60, s61                                    // 000000013738: 923D3D3C
	s_add_u32 s82, s82, s61                                    // 00000001373C: 80523D52
	v_mul_lo_u32 v6, v5, s82                                   // 000000013740: D2850006 0000A505
	v_readlane_b32 s82, v3, 23                                 // 000000013748: D2890052 00012F03
	s_lshr_b32 s61, s82, 24                                    // 000000013750: 8F3D9852
	s_and_b32 s82, s82, 0xffffff                               // 000000013754: 8652FF52 00FFFFFF
	s_mul_i32 s82, s82, s71                                    // 00000001375C: 92524752
	s_mul_i32 s61, s60, s61                                    // 000000013760: 923D3D3C
	s_add_u32 s82, s82, s61                                    // 000000013764: 80523D52
	v_mul_lo_u32 v7, v4, s82                                   // 000000013768: D2850007 0000A504
	v_add_u32_e32 v73, v6, v7                                  // 000000013770: 68920F06
	v_readlane_b32 s82, v3, 24                                 // 000000013774: D2890052 00013103
	s_lshr_b32 s61, s82, 24                                    // 00000001377C: 8F3D9852
	s_and_b32 s82, s82, 0xffffff                               // 000000013780: 8652FF52 00FFFFFF
	s_mul_i32 s82, s82, s71                                    // 000000013788: 92524752
	s_mul_i32 s61, s60, s61                                    // 00000001378C: 923D3D3C
	s_add_u32 s82, s82, s61                                    // 000000013790: 80523D52
	v_mul_lo_u32 v6, v5, s82                                   // 000000013794: D2850006 0000A505
	v_readlane_b32 s82, v3, 25                                 // 00000001379C: D2890052 00013303
	s_lshr_b32 s61, s82, 24                                    // 0000000137A4: 8F3D9852
	s_and_b32 s82, s82, 0xffffff                               // 0000000137A8: 8652FF52 00FFFFFF
	s_mul_i32 s82, s82, s71                                    // 0000000137B0: 92524752
	s_mul_i32 s61, s60, s61                                    // 0000000137B4: 923D3D3C
	s_add_u32 s82, s82, s61                                    // 0000000137B8: 80523D52
	v_mul_lo_u32 v7, v4, s82                                   // 0000000137BC: D2850007 0000A504
	v_add_u32_e32 v74, v6, v7                                  // 0000000137C4: 68940F06
	v_readlane_b32 s82, v3, 26                                 // 0000000137C8: D2890052 00013503
	s_lshr_b32 s61, s82, 24                                    // 0000000137D0: 8F3D9852
	s_and_b32 s82, s82, 0xffffff                               // 0000000137D4: 8652FF52 00FFFFFF
	s_mul_i32 s82, s82, s71                                    // 0000000137DC: 92524752
	s_mul_i32 s61, s60, s61                                    // 0000000137E0: 923D3D3C
	s_add_u32 s82, s82, s61                                    // 0000000137E4: 80523D52
	v_mul_lo_u32 v6, v5, s82                                   // 0000000137E8: D2850006 0000A505
	v_readlane_b32 s82, v3, 27                                 // 0000000137F0: D2890052 00013703
	s_lshr_b32 s61, s82, 24                                    // 0000000137F8: 8F3D9852
	s_and_b32 s82, s82, 0xffffff                               // 0000000137FC: 8652FF52 00FFFFFF
	s_mul_i32 s82, s82, s71                                    // 000000013804: 92524752
	s_mul_i32 s61, s60, s61                                    // 000000013808: 923D3D3C
	s_add_u32 s82, s82, s61                                    // 00000001380C: 80523D52
	v_mul_lo_u32 v7, v4, s82                                   // 000000013810: D2850007 0000A504
	v_add_u32_e32 v75, v6, v7                                  // 000000013818: 68960F06
	v_readlane_b32 s82, v3, 28                                 // 00000001381C: D2890052 00013903
	s_lshr_b32 s61, s82, 24                                    // 000000013824: 8F3D9852
	s_and_b32 s82, s82, 0xffffff                               // 000000013828: 8652FF52 00FFFFFF
	s_mul_i32 s82, s82, s71                                    // 000000013830: 92524752
	s_mul_i32 s61, s60, s61                                    // 000000013834: 923D3D3C
	s_add_u32 s82, s82, s61                                    // 000000013838: 80523D52
	v_mul_lo_u32 v6, v5, s82                                   // 00000001383C: D2850006 0000A505
	v_readlane_b32 s82, v3, 29                                 // 000000013844: D2890052 00013B03
	s_lshr_b32 s61, s82, 24                                    // 00000001384C: 8F3D9852
	s_and_b32 s82, s82, 0xffffff                               // 000000013850: 8652FF52 00FFFFFF
	s_mul_i32 s82, s82, s71                                    // 000000013858: 92524752
	s_mul_i32 s61, s60, s61                                    // 00000001385C: 923D3D3C
	s_add_u32 s82, s82, s61                                    // 000000013860: 80523D52
	v_mul_lo_u32 v7, v4, s82                                   // 000000013864: D2850007 0000A504
	v_add_u32_e32 v76, v6, v7                                  // 00000001386C: 68980F06
	v_readlane_b32 s82, v3, 30                                 // 000000013870: D2890052 00013D03
	s_lshr_b32 s61, s82, 24                                    // 000000013878: 8F3D9852
	s_and_b32 s82, s82, 0xffffff                               // 00000001387C: 8652FF52 00FFFFFF
	s_mul_i32 s82, s82, s71                                    // 000000013884: 92524752
	s_mul_i32 s61, s60, s61                                    // 000000013888: 923D3D3C
	s_add_u32 s82, s82, s61                                    // 00000001388C: 80523D52
	v_mul_lo_u32 v6, v5, s82                                   // 000000013890: D2850006 0000A505
	v_readlane_b32 s82, v3, 31                                 // 000000013898: D2890052 00013F03
	s_lshr_b32 s61, s82, 24                                    // 0000000138A0: 8F3D9852
	s_and_b32 s82, s82, 0xffffff                               // 0000000138A4: 8652FF52 00FFFFFF
	s_mul_i32 s82, s82, s71                                    // 0000000138AC: 92524752
	s_mul_i32 s61, s60, s61                                    // 0000000138B0: 923D3D3C
	s_add_u32 s82, s82, s61                                    // 0000000138B4: 80523D52
	v_mul_lo_u32 v7, v4, s82                                   // 0000000138B8: D2850007 0000A504
	v_add_u32_e32 v77, v6, v7                                  // 0000000138C0: 689A0F06
	v_and_b32_e32 v4, 31, v0                                   // 0000000138C4: 2608009F
	v_lshrrev_b32_e32 v4, 1, v4                                // 0000000138C8: 20080881
	s_cmp_eq_u32 s88, 0                                        // 0000000138CC: BF068058
	s_cselect_b32 s61, 2, 4                                    // 0000000138D0: 853D8482
	v_mul_lo_u32 v4, v4, s61                                   // 0000000138D4: D2850004 00007B04
	v_and_b32_e64 v5, v0, 1                                    // 0000000138DC: D1130005 00010300
	v_add_u32_e32 v4, v4, v5                                   // 0000000138E4: 68080B04
	v_lshlrev_b32_e32 v4, 2, v4                                // 0000000138E8: 24080882
	v_add_u32_e32 v62, v62, v4                                 // 0000000138EC: 687C093E
	v_add_u32_e32 v63, v63, v4                                 // 0000000138F0: 687E093F
	v_add_u32_e32 v64, v64, v4                                 // 0000000138F4: 68800940
	v_add_u32_e32 v65, v65, v4                                 // 0000000138F8: 68820941
	v_add_u32_e32 v66, v66, v4                                 // 0000000138FC: 68840942
	v_add_u32_e32 v67, v67, v4                                 // 000000013900: 68860943
	v_add_u32_e32 v68, v68, v4                                 // 000000013904: 68880944
	v_add_u32_e32 v69, v69, v4                                 // 000000013908: 688A0945
	v_add_u32_e32 v70, v70, v4                                 // 00000001390C: 688C0946
	v_add_u32_e32 v71, v71, v4                                 // 000000013910: 688E0947
	v_add_u32_e32 v72, v72, v4                                 // 000000013914: 68900948
	v_add_u32_e32 v73, v73, v4                                 // 000000013918: 68920949
	v_add_u32_e32 v74, v74, v4                                 // 00000001391C: 6894094A
	v_add_u32_e32 v75, v75, v4                                 // 000000013920: 6896094B
	v_add_u32_e32 v76, v76, v4                                 // 000000013924: 6898094C
	v_add_u32_e32 v77, v77, v4                                 // 000000013928: 689A094D
	s_waitcnt lgkmcnt(0)                                       // 00000001392C: BF8CC07F
	s_barrier                                                  // 000000013930: BF8A0000
	ds_read_b32 v80, v21                                       // 000000013934: D86C0000 50000015
	ds_read_b32 v81, v21 offset:64                             // 00000001393C: D86C0040 51000015
	ds_read_b32 v84, v21 offset:2176                           // 000000013944: D86C0880 54000015
	ds_read_b32 v85, v21 offset:2240                           // 00000001394C: D86C08C0 55000015
	ds_read_b32 v88, v21 offset:4352                           // 000000013954: D86C1100 58000015
	ds_read_b32 v89, v21 offset:4416                           // 00000001395C: D86C1140 59000015
	ds_read_b32 v92, v21 offset:6528                           // 000000013964: D86C1980 5C000015
	ds_read_b32 v93, v21 offset:6592                           // 00000001396C: D86C19C0 5D000015
	ds_read_b32 v96, v21 offset:8704                           // 000000013974: D86C2200 60000015
	ds_read_b32 v97, v21 offset:8768                           // 00000001397C: D86C2240 61000015
	ds_read_b32 v100, v21 offset:10880                         // 000000013984: D86C2A80 64000015
	ds_read_b32 v101, v21 offset:10944                         // 00000001398C: D86C2AC0 65000015
	ds_read_b32 v104, v21 offset:13056                         // 000000013994: D86C3300 68000015
	ds_read_b32 v105, v21 offset:13120                         // 00000001399C: D86C3340 69000015
	ds_read_b32 v108, v21 offset:15232                         // 0000000139A4: D86C3B80 6C000015
	ds_read_b32 v109, v21 offset:15296                         // 0000000139AC: D86C3BC0 6D000015
	ds_read_b32 v112, v21 offset:17408                         // 0000000139B4: D86C4400 70000015
	ds_read_b32 v113, v21 offset:17472                         // 0000000139BC: D86C4440 71000015
	ds_read_b32 v116, v21 offset:19584                         // 0000000139C4: D86C4C80 74000015
	ds_read_b32 v117, v21 offset:19648                         // 0000000139CC: D86C4CC0 75000015
	ds_read_b32 v120, v21 offset:21760                         // 0000000139D4: D86C5500 78000015
	ds_read_b32 v121, v21 offset:21824                         // 0000000139DC: D86C5540 79000015
	ds_read_b32 v124, v21 offset:23936                         // 0000000139E4: D86C5D80 7C000015
	ds_read_b32 v125, v21 offset:24000                         // 0000000139EC: D86C5DC0 7D000015
	ds_read_b32 v128, v21 offset:26112                         // 0000000139F4: D86C6600 80000015
	ds_read_b32 v129, v21 offset:26176                         // 0000000139FC: D86C6640 81000015
	ds_read_b32 v132, v21 offset:28288                         // 000000013A04: D86C6E80 84000015
	ds_read_b32 v133, v21 offset:28352                         // 000000013A0C: D86C6EC0 85000015
	ds_read_b32 v136, v21 offset:30464                         // 000000013A14: D86C7700 88000015
	ds_read_b32 v137, v21 offset:30528                         // 000000013A1C: D86C7740 89000015
	ds_read_b32 v140, v21 offset:32640                         // 000000013A24: D86C7F80 8C000015
	ds_read_b32 v141, v21 offset:32704                         // 000000013A2C: D86C7FC0 8D000015
	s_waitcnt lgkmcnt(0)                                       // 000000013A34: BF8CC07F
	s_mov_b32 s36, -1                                          // 000000013A38: BEA400C1
	s_mov_b32 s37, -1                                          // 000000013A3C: BEA500C1
	v_mov_b32_e32 v7, 0                                        // 000000013A40: 7E0E0280
	s_mov_b64 exec, s[36:37]                                   // 000000013A44: BEFE0124
	v_mov_b32_e32 v6, v62                                      // 000000013A48: 7E0C033E
	s_mov_b64 s[60:61], 0                                      // 000000013A4C: BEBC0180
	v_readlane_b32 s82, v3, 0                                  // 000000013A50: D2890052 00010103
	s_and_b32 s82, s82, 0xffffff                               // 000000013A58: 8652FF52 00FFFFFF
	s_cmp_lt_u32 s82, s66                                      // 000000013A60: BF0A4252
	s_cselect_b32 s20, s36, s60                                // 000000013A64: 85143C24
	v_readlane_b32 s82, v3, 1                                  // 000000013A68: D2890052 00010303
	s_and_b32 s82, s82, 0xffffff                               // 000000013A70: 8652FF52 00FFFFFF
	s_cmp_lt_u32 s82, s66                                      // 000000013A78: BF0A4252
	s_cselect_b32 s21, s36, s60                                // 000000013A7C: 85153C24
	s_mov_b64 exec, s[20:21]                                   // 000000013A80: BEFE0114
	global_atomic_add_f32 v6, v80, s[8:9]                      // 000000013A84: DD348000 00085006
	global_atomic_add_f32 v6, v84, s[8:9] offset:256           // 000000013A8C: DD348100 00085406
	s_mov_b64 exec, s[36:37]                                   // 000000013A94: BEFE0124
	v_mov_b32_e32 v6, v63                                      // 000000013A98: 7E0C033F
	s_mov_b64 s[60:61], 0                                      // 000000013A9C: BEBC0180
	v_readlane_b32 s82, v3, 2                                  // 000000013AA0: D2890052 00010503
	s_and_b32 s82, s82, 0xffffff                               // 000000013AA8: 8652FF52 00FFFFFF
	s_cmp_lt_u32 s82, s66                                      // 000000013AB0: BF0A4252
	s_cselect_b32 s20, s36, s60                                // 000000013AB4: 85143C24
	v_readlane_b32 s82, v3, 3                                  // 000000013AB8: D2890052 00010703
	s_and_b32 s82, s82, 0xffffff                               // 000000013AC0: 8652FF52 00FFFFFF
	s_cmp_lt_u32 s82, s66                                      // 000000013AC8: BF0A4252
	s_cselect_b32 s21, s36, s60                                // 000000013ACC: 85153C24
	s_mov_b64 exec, s[20:21]                                   // 000000013AD0: BEFE0114
	global_atomic_add_f32 v6, v81, s[8:9]                      // 000000013AD4: DD348000 00085106
	global_atomic_add_f32 v6, v85, s[8:9] offset:256           // 000000013ADC: DD348100 00085506
	s_mov_b64 exec, s[36:37]                                   // 000000013AE4: BEFE0124
	v_mov_b32_e32 v6, v64                                      // 000000013AE8: 7E0C0340
	s_mov_b64 s[60:61], 0                                      // 000000013AEC: BEBC0180
	v_readlane_b32 s82, v3, 4                                  // 000000013AF0: D2890052 00010903
	s_and_b32 s82, s82, 0xffffff                               // 000000013AF8: 8652FF52 00FFFFFF
	s_cmp_lt_u32 s82, s66                                      // 000000013B00: BF0A4252
	s_cselect_b32 s20, s36, s60                                // 000000013B04: 85143C24
	v_readlane_b32 s82, v3, 5                                  // 000000013B08: D2890052 00010B03
	s_and_b32 s82, s82, 0xffffff                               // 000000013B10: 8652FF52 00FFFFFF
	s_cmp_lt_u32 s82, s66                                      // 000000013B18: BF0A4252
	s_cselect_b32 s21, s36, s60                                // 000000013B1C: 85153C24
	s_mov_b64 exec, s[20:21]                                   // 000000013B20: BEFE0114
	global_atomic_add_f32 v6, v88, s[8:9]                      // 000000013B24: DD348000 00085806
	global_atomic_add_f32 v6, v92, s[8:9] offset:256           // 000000013B2C: DD348100 00085C06
	s_mov_b64 exec, s[36:37]                                   // 000000013B34: BEFE0124
	v_mov_b32_e32 v6, v65                                      // 000000013B38: 7E0C0341
	s_mov_b64 s[60:61], 0                                      // 000000013B3C: BEBC0180
	v_readlane_b32 s82, v3, 6                                  // 000000013B40: D2890052 00010D03
	s_and_b32 s82, s82, 0xffffff                               // 000000013B48: 8652FF52 00FFFFFF
	s_cmp_lt_u32 s82, s66                                      // 000000013B50: BF0A4252
	s_cselect_b32 s20, s36, s60                                // 000000013B54: 85143C24
	v_readlane_b32 s82, v3, 7                                  // 000000013B58: D2890052 00010F03
	s_and_b32 s82, s82, 0xffffff                               // 000000013B60: 8652FF52 00FFFFFF
	s_cmp_lt_u32 s82, s66                                      // 000000013B68: BF0A4252
	s_cselect_b32 s21, s36, s60                                // 000000013B6C: 85153C24
	s_mov_b64 exec, s[20:21]                                   // 000000013B70: BEFE0114
	global_atomic_add_f32 v6, v89, s[8:9]                      // 000000013B74: DD348000 00085906
	global_atomic_add_f32 v6, v93, s[8:9] offset:256           // 000000013B7C: DD348100 00085D06
	s_mov_b64 exec, s[36:37]                                   // 000000013B84: BEFE0124
	v_mov_b32_e32 v6, v66                                      // 000000013B88: 7E0C0342
	s_mov_b64 s[60:61], 0                                      // 000000013B8C: BEBC0180
	v_readlane_b32 s82, v3, 8                                  // 000000013B90: D2890052 00011103
	s_and_b32 s82, s82, 0xffffff                               // 000000013B98: 8652FF52 00FFFFFF
	s_cmp_lt_u32 s82, s66                                      // 000000013BA0: BF0A4252
	s_cselect_b32 s20, s36, s60                                // 000000013BA4: 85143C24
	v_readlane_b32 s82, v3, 9                                  // 000000013BA8: D2890052 00011303
	s_and_b32 s82, s82, 0xffffff                               // 000000013BB0: 8652FF52 00FFFFFF
	s_cmp_lt_u32 s82, s66                                      // 000000013BB8: BF0A4252
	s_cselect_b32 s21, s36, s60                                // 000000013BBC: 85153C24
	s_mov_b64 exec, s[20:21]                                   // 000000013BC0: BEFE0114
	global_atomic_add_f32 v6, v96, s[8:9]                      // 000000013BC4: DD348000 00086006
	global_atomic_add_f32 v6, v100, s[8:9] offset:256          // 000000013BCC: DD348100 00086406
	s_mov_b64 exec, s[36:37]                                   // 000000013BD4: BEFE0124
	v_mov_b32_e32 v6, v67                                      // 000000013BD8: 7E0C0343
	s_mov_b64 s[60:61], 0                                      // 000000013BDC: BEBC0180
	v_readlane_b32 s82, v3, 10                                 // 000000013BE0: D2890052 00011503
	s_and_b32 s82, s82, 0xffffff                               // 000000013BE8: 8652FF52 00FFFFFF
	s_cmp_lt_u32 s82, s66                                      // 000000013BF0: BF0A4252
	s_cselect_b32 s20, s36, s60                                // 000000013BF4: 85143C24
	v_readlane_b32 s82, v3, 11                                 // 000000013BF8: D2890052 00011703
	s_and_b32 s82, s82, 0xffffff                               // 000000013C00: 8652FF52 00FFFFFF
	s_cmp_lt_u32 s82, s66                                      // 000000013C08: BF0A4252
	s_cselect_b32 s21, s36, s60                                // 000000013C0C: 85153C24
	s_mov_b64 exec, s[20:21]                                   // 000000013C10: BEFE0114
	global_atomic_add_f32 v6, v97, s[8:9]                      // 000000013C14: DD348000 00086106
	global_atomic_add_f32 v6, v101, s[8:9] offset:256          // 000000013C1C: DD348100 00086506
	s_mov_b64 exec, s[36:37]                                   // 000000013C24: BEFE0124
	v_mov_b32_e32 v6, v68                                      // 000000013C28: 7E0C0344
	s_mov_b64 s[60:61], 0                                      // 000000013C2C: BEBC0180
	v_readlane_b32 s82, v3, 12                                 // 000000013C30: D2890052 00011903
	s_and_b32 s82, s82, 0xffffff                               // 000000013C38: 8652FF52 00FFFFFF
	s_cmp_lt_u32 s82, s66                                      // 000000013C40: BF0A4252
	s_cselect_b32 s20, s36, s60                                // 000000013C44: 85143C24
	v_readlane_b32 s82, v3, 13                                 // 000000013C48: D2890052 00011B03
	s_and_b32 s82, s82, 0xffffff                               // 000000013C50: 8652FF52 00FFFFFF
	s_cmp_lt_u32 s82, s66                                      // 000000013C58: BF0A4252
	s_cselect_b32 s21, s36, s60                                // 000000013C5C: 85153C24
	s_mov_b64 exec, s[20:21]                                   // 000000013C60: BEFE0114
	global_atomic_add_f32 v6, v104, s[8:9]                     // 000000013C64: DD348000 00086806
	global_atomic_add_f32 v6, v108, s[8:9] offset:256          // 000000013C6C: DD348100 00086C06
	s_mov_b64 exec, s[36:37]                                   // 000000013C74: BEFE0124
	v_mov_b32_e32 v6, v69                                      // 000000013C78: 7E0C0345
	s_mov_b64 s[60:61], 0                                      // 000000013C7C: BEBC0180
	v_readlane_b32 s82, v3, 14                                 // 000000013C80: D2890052 00011D03
	s_and_b32 s82, s82, 0xffffff                               // 000000013C88: 8652FF52 00FFFFFF
	s_cmp_lt_u32 s82, s66                                      // 000000013C90: BF0A4252
	s_cselect_b32 s20, s36, s60                                // 000000013C94: 85143C24
	v_readlane_b32 s82, v3, 15                                 // 000000013C98: D2890052 00011F03
	s_and_b32 s82, s82, 0xffffff                               // 000000013CA0: 8652FF52 00FFFFFF
	s_cmp_lt_u32 s82, s66                                      // 000000013CA8: BF0A4252
	s_cselect_b32 s21, s36, s60                                // 000000013CAC: 85153C24
	s_mov_b64 exec, s[20:21]                                   // 000000013CB0: BEFE0114
	global_atomic_add_f32 v6, v105, s[8:9]                     // 000000013CB4: DD348000 00086906
	global_atomic_add_f32 v6, v109, s[8:9] offset:256          // 000000013CBC: DD348100 00086D06
	s_mov_b64 exec, s[36:37]                                   // 000000013CC4: BEFE0124
	v_mov_b32_e32 v6, v70                                      // 000000013CC8: 7E0C0346
	s_mov_b64 s[60:61], 0                                      // 000000013CCC: BEBC0180
	v_readlane_b32 s82, v3, 16                                 // 000000013CD0: D2890052 00012103
	s_and_b32 s82, s82, 0xffffff                               // 000000013CD8: 8652FF52 00FFFFFF
	s_cmp_lt_u32 s82, s66                                      // 000000013CE0: BF0A4252
	s_cselect_b32 s20, s36, s60                                // 000000013CE4: 85143C24
	v_readlane_b32 s82, v3, 17                                 // 000000013CE8: D2890052 00012303
	s_and_b32 s82, s82, 0xffffff                               // 000000013CF0: 8652FF52 00FFFFFF
	s_cmp_lt_u32 s82, s66                                      // 000000013CF8: BF0A4252
	s_cselect_b32 s21, s36, s60                                // 000000013CFC: 85153C24
	s_mov_b64 exec, s[20:21]                                   // 000000013D00: BEFE0114
	global_atomic_add_f32 v6, v112, s[8:9]                     // 000000013D04: DD348000 00087006
	global_atomic_add_f32 v6, v116, s[8:9] offset:256          // 000000013D0C: DD348100 00087406
	s_mov_b64 exec, s[36:37]                                   // 000000013D14: BEFE0124
	v_mov_b32_e32 v6, v71                                      // 000000013D18: 7E0C0347
	s_mov_b64 s[60:61], 0                                      // 000000013D1C: BEBC0180
	v_readlane_b32 s82, v3, 18                                 // 000000013D20: D2890052 00012503
	s_and_b32 s82, s82, 0xffffff                               // 000000013D28: 8652FF52 00FFFFFF
	s_cmp_lt_u32 s82, s66                                      // 000000013D30: BF0A4252
	s_cselect_b32 s20, s36, s60                                // 000000013D34: 85143C24
	v_readlane_b32 s82, v3, 19                                 // 000000013D38: D2890052 00012703
	s_and_b32 s82, s82, 0xffffff                               // 000000013D40: 8652FF52 00FFFFFF
	s_cmp_lt_u32 s82, s66                                      // 000000013D48: BF0A4252
	s_cselect_b32 s21, s36, s60                                // 000000013D4C: 85153C24
	s_mov_b64 exec, s[20:21]                                   // 000000013D50: BEFE0114
	global_atomic_add_f32 v6, v113, s[8:9]                     // 000000013D54: DD348000 00087106
	global_atomic_add_f32 v6, v117, s[8:9] offset:256          // 000000013D5C: DD348100 00087506
	s_mov_b64 exec, s[36:37]                                   // 000000013D64: BEFE0124
	v_mov_b32_e32 v6, v72                                      // 000000013D68: 7E0C0348
	s_mov_b64 s[60:61], 0                                      // 000000013D6C: BEBC0180
	v_readlane_b32 s82, v3, 20                                 // 000000013D70: D2890052 00012903
	s_and_b32 s82, s82, 0xffffff                               // 000000013D78: 8652FF52 00FFFFFF
	s_cmp_lt_u32 s82, s66                                      // 000000013D80: BF0A4252
	s_cselect_b32 s20, s36, s60                                // 000000013D84: 85143C24
	v_readlane_b32 s82, v3, 21                                 // 000000013D88: D2890052 00012B03
	s_and_b32 s82, s82, 0xffffff                               // 000000013D90: 8652FF52 00FFFFFF
	s_cmp_lt_u32 s82, s66                                      // 000000013D98: BF0A4252
	s_cselect_b32 s21, s36, s60                                // 000000013D9C: 85153C24
	s_mov_b64 exec, s[20:21]                                   // 000000013DA0: BEFE0114
	global_atomic_add_f32 v6, v120, s[8:9]                     // 000000013DA4: DD348000 00087806
	global_atomic_add_f32 v6, v124, s[8:9] offset:256          // 000000013DAC: DD348100 00087C06
	s_mov_b64 exec, s[36:37]                                   // 000000013DB4: BEFE0124
	v_mov_b32_e32 v6, v73                                      // 000000013DB8: 7E0C0349
	s_mov_b64 s[60:61], 0                                      // 000000013DBC: BEBC0180
	v_readlane_b32 s82, v3, 22                                 // 000000013DC0: D2890052 00012D03
	s_and_b32 s82, s82, 0xffffff                               // 000000013DC8: 8652FF52 00FFFFFF
	s_cmp_lt_u32 s82, s66                                      // 000000013DD0: BF0A4252
	s_cselect_b32 s20, s36, s60                                // 000000013DD4: 85143C24
	v_readlane_b32 s82, v3, 23                                 // 000000013DD8: D2890052 00012F03
	s_and_b32 s82, s82, 0xffffff                               // 000000013DE0: 8652FF52 00FFFFFF
	s_cmp_lt_u32 s82, s66                                      // 000000013DE8: BF0A4252
	s_cselect_b32 s21, s36, s60                                // 000000013DEC: 85153C24
	s_mov_b64 exec, s[20:21]                                   // 000000013DF0: BEFE0114
	global_atomic_add_f32 v6, v121, s[8:9]                     // 000000013DF4: DD348000 00087906
	global_atomic_add_f32 v6, v125, s[8:9] offset:256          // 000000013DFC: DD348100 00087D06
	s_mov_b64 exec, s[36:37]                                   // 000000013E04: BEFE0124
	v_mov_b32_e32 v6, v74                                      // 000000013E08: 7E0C034A
	s_mov_b64 s[60:61], 0                                      // 000000013E0C: BEBC0180
	v_readlane_b32 s82, v3, 24                                 // 000000013E10: D2890052 00013103
	s_and_b32 s82, s82, 0xffffff                               // 000000013E18: 8652FF52 00FFFFFF
	s_cmp_lt_u32 s82, s66                                      // 000000013E20: BF0A4252
	s_cselect_b32 s20, s36, s60                                // 000000013E24: 85143C24
	v_readlane_b32 s82, v3, 25                                 // 000000013E28: D2890052 00013303
	s_and_b32 s82, s82, 0xffffff                               // 000000013E30: 8652FF52 00FFFFFF
	s_cmp_lt_u32 s82, s66                                      // 000000013E38: BF0A4252
	s_cselect_b32 s21, s36, s60                                // 000000013E3C: 85153C24
	s_mov_b64 exec, s[20:21]                                   // 000000013E40: BEFE0114
	global_atomic_add_f32 v6, v128, s[8:9]                     // 000000013E44: DD348000 00088006
	global_atomic_add_f32 v6, v132, s[8:9] offset:256          // 000000013E4C: DD348100 00088406
	s_mov_b64 exec, s[36:37]                                   // 000000013E54: BEFE0124
	v_mov_b32_e32 v6, v75                                      // 000000013E58: 7E0C034B
	s_mov_b64 s[60:61], 0                                      // 000000013E5C: BEBC0180
	v_readlane_b32 s82, v3, 26                                 // 000000013E60: D2890052 00013503
	s_and_b32 s82, s82, 0xffffff                               // 000000013E68: 8652FF52 00FFFFFF
	s_cmp_lt_u32 s82, s66                                      // 000000013E70: BF0A4252
	s_cselect_b32 s20, s36, s60                                // 000000013E74: 85143C24
	v_readlane_b32 s82, v3, 27                                 // 000000013E78: D2890052 00013703
	s_and_b32 s82, s82, 0xffffff                               // 000000013E80: 8652FF52 00FFFFFF
	s_cmp_lt_u32 s82, s66                                      // 000000013E88: BF0A4252
	s_cselect_b32 s21, s36, s60                                // 000000013E8C: 85153C24
	s_mov_b64 exec, s[20:21]                                   // 000000013E90: BEFE0114
	global_atomic_add_f32 v6, v129, s[8:9]                     // 000000013E94: DD348000 00088106
	global_atomic_add_f32 v6, v133, s[8:9] offset:256          // 000000013E9C: DD348100 00088506
	s_mov_b64 exec, s[36:37]                                   // 000000013EA4: BEFE0124
	v_mov_b32_e32 v6, v76                                      // 000000013EA8: 7E0C034C
	s_mov_b64 s[60:61], 0                                      // 000000013EAC: BEBC0180
	v_readlane_b32 s82, v3, 28                                 // 000000013EB0: D2890052 00013903
	s_and_b32 s82, s82, 0xffffff                               // 000000013EB8: 8652FF52 00FFFFFF
	s_cmp_lt_u32 s82, s66                                      // 000000013EC0: BF0A4252
	s_cselect_b32 s20, s36, s60                                // 000000013EC4: 85143C24
	v_readlane_b32 s82, v3, 29                                 // 000000013EC8: D2890052 00013B03
	s_and_b32 s82, s82, 0xffffff                               // 000000013ED0: 8652FF52 00FFFFFF
	s_cmp_lt_u32 s82, s66                                      // 000000013ED8: BF0A4252
	s_cselect_b32 s21, s36, s60                                // 000000013EDC: 85153C24
	s_mov_b64 exec, s[20:21]                                   // 000000013EE0: BEFE0114
	global_atomic_add_f32 v6, v136, s[8:9]                     // 000000013EE4: DD348000 00088806
	global_atomic_add_f32 v6, v140, s[8:9] offset:256          // 000000013EEC: DD348100 00088C06
	s_mov_b64 exec, s[36:37]                                   // 000000013EF4: BEFE0124
	v_mov_b32_e32 v6, v77                                      // 000000013EF8: 7E0C034D
	s_mov_b64 s[60:61], 0                                      // 000000013EFC: BEBC0180
	v_readlane_b32 s82, v3, 30                                 // 000000013F00: D2890052 00013D03
	s_and_b32 s82, s82, 0xffffff                               // 000000013F08: 8652FF52 00FFFFFF
	s_cmp_lt_u32 s82, s66                                      // 000000013F10: BF0A4252
	s_cselect_b32 s20, s36, s60                                // 000000013F14: 85143C24
	v_readlane_b32 s82, v3, 31                                 // 000000013F18: D2890052 00013F03
	s_and_b32 s82, s82, 0xffffff                               // 000000013F20: 8652FF52 00FFFFFF
	s_cmp_lt_u32 s82, s66                                      // 000000013F28: BF0A4252
	s_cselect_b32 s21, s36, s60                                // 000000013F2C: 85153C24
	s_mov_b64 exec, s[20:21]                                   // 000000013F30: BEFE0114
	global_atomic_add_f32 v6, v137, s[8:9]                     // 000000013F34: DD348000 00088906
	global_atomic_add_f32 v6, v141, s[8:9] offset:256          // 000000013F3C: DD348100 00088D06
	s_mov_b64 exec, s[36:37]                                   // 000000013F44: BEFE0124
	ds_write_b64 v20, v[82:83]                                 // 000000013F48: D89A0000 00005214
	ds_write_b64 v20, v[86:87] offset:4352                     // 000000013F50: D89A1100 00005614
	ds_write_b64 v20, v[90:91] offset:8704                     // 000000013F58: D89A2200 00005A14
	ds_write_b64 v20, v[94:95] offset:13056                    // 000000013F60: D89A3300 00005E14
	ds_write_b64 v20, v[98:99] offset:17408                    // 000000013F68: D89A4400 00006214
	ds_write_b64 v20, v[102:103] offset:21760                  // 000000013F70: D89A5500 00006614
	ds_write_b64 v20, v[106:107] offset:26112                  // 000000013F78: D89A6600 00006A14
	ds_write_b64 v20, v[110:111] offset:30464                  // 000000013F80: D89A7700 00006E14
	ds_write_b64 v20, v[114:115] offset:2176                   // 000000013F88: D89A0880 00007214
	ds_write_b64 v20, v[118:119] offset:6528                   // 000000013F90: D89A1980 00007614
	ds_write_b64 v20, v[122:123] offset:10880                  // 000000013F98: D89A2A80 00007A14
	ds_write_b64 v20, v[126:127] offset:15232                  // 000000013FA0: D89A3B80 00007E14
	ds_write_b64 v20, v[130:131] offset:19584                  // 000000013FA8: D89A4C80 00008214
	ds_write_b64 v20, v[134:135] offset:23936                  // 000000013FB0: D89A5D80 00008614
	ds_write_b64 v20, v[138:139] offset:28288                  // 000000013FB8: D89A6E80 00008A14
	ds_write_b64 v20, v[142:143] offset:32640                  // 000000013FC0: D89A7F80 00008E14
	s_waitcnt lgkmcnt(0)                                       // 000000013FC8: BF8CC07F
	s_barrier                                                  // 000000013FCC: BF8A0000
	ds_read_b32 v82, v21                                       // 000000013FD0: D86C0000 52000015
	ds_read_b32 v83, v21 offset:64                             // 000000013FD8: D86C0040 53000015
	ds_read_b32 v86, v21 offset:2176                           // 000000013FE0: D86C0880 56000015
	ds_read_b32 v87, v21 offset:2240                           // 000000013FE8: D86C08C0 57000015
	ds_read_b32 v90, v21 offset:4352                           // 000000013FF0: D86C1100 5A000015
	ds_read_b32 v91, v21 offset:4416                           // 000000013FF8: D86C1140 5B000015
	ds_read_b32 v94, v21 offset:6528                           // 000000014000: D86C1980 5E000015
	ds_read_b32 v95, v21 offset:6592                           // 000000014008: D86C19C0 5F000015
	ds_read_b32 v98, v21 offset:8704                           // 000000014010: D86C2200 62000015
	ds_read_b32 v99, v21 offset:8768                           // 000000014018: D86C2240 63000015
	ds_read_b32 v102, v21 offset:10880                         // 000000014020: D86C2A80 66000015
	ds_read_b32 v103, v21 offset:10944                         // 000000014028: D86C2AC0 67000015
	ds_read_b32 v106, v21 offset:13056                         // 000000014030: D86C3300 6A000015
	ds_read_b32 v107, v21 offset:13120                         // 000000014038: D86C3340 6B000015
	ds_read_b32 v110, v21 offset:15232                         // 000000014040: D86C3B80 6E000015
	ds_read_b32 v111, v21 offset:15296                         // 000000014048: D86C3BC0 6F000015
	ds_read_b32 v114, v21 offset:17408                         // 000000014050: D86C4400 72000015
	ds_read_b32 v115, v21 offset:17472                         // 000000014058: D86C4440 73000015
	ds_read_b32 v118, v21 offset:19584                         // 000000014060: D86C4C80 76000015
	ds_read_b32 v119, v21 offset:19648                         // 000000014068: D86C4CC0 77000015
	ds_read_b32 v122, v21 offset:21760                         // 000000014070: D86C5500 7A000015
	ds_read_b32 v123, v21 offset:21824                         // 000000014078: D86C5540 7B000015
	ds_read_b32 v126, v21 offset:23936                         // 000000014080: D86C5D80 7E000015
	ds_read_b32 v127, v21 offset:24000                         // 000000014088: D86C5DC0 7F000015
	ds_read_b32 v130, v21 offset:26112                         // 000000014090: D86C6600 82000015
	ds_read_b32 v131, v21 offset:26176                         // 000000014098: D86C6640 83000015
	ds_read_b32 v134, v21 offset:28288                         // 0000000140A0: D86C6E80 86000015
	ds_read_b32 v135, v21 offset:28352                         // 0000000140A8: D86C6EC0 87000015
	ds_read_b32 v138, v21 offset:30464                         // 0000000140B0: D86C7700 8A000015
	ds_read_b32 v139, v21 offset:30528                         // 0000000140B8: D86C7740 8B000015
	ds_read_b32 v142, v21 offset:32640                         // 0000000140C0: D86C7F80 8E000015
	ds_read_b32 v143, v21 offset:32704                         // 0000000140C8: D86C7FC0 8F000015
	s_waitcnt lgkmcnt(0)                                       // 0000000140D0: BF8CC07F
	v_mov_b32_e32 v7, 0                                        // 0000000140D4: 7E0E0280
	s_mov_b64 exec, s[36:37]                                   // 0000000140D8: BEFE0124
	v_mov_b32_e32 v6, v62                                      // 0000000140DC: 7E0C033E
	s_mov_b64 s[60:61], 0                                      // 0000000140E0: BEBC0180
	v_readlane_b32 s82, v3, 0                                  // 0000000140E4: D2890052 00010103
	s_and_b32 s82, s82, 0xffffff                               // 0000000140EC: 8652FF52 00FFFFFF
	s_cmp_lt_u32 s82, s66                                      // 0000000140F4: BF0A4252
	s_cselect_b32 s20, s36, s60                                // 0000000140F8: 85143C24
	v_readlane_b32 s82, v3, 1                                  // 0000000140FC: D2890052 00010303
	s_and_b32 s82, s82, 0xffffff                               // 000000014104: 8652FF52 00FFFFFF
	s_cmp_lt_u32 s82, s66                                      // 00000001410C: BF0A4252
	s_cselect_b32 s21, s36, s60                                // 000000014110: 85153C24
	s_mov_b64 exec, s[20:21]                                   // 000000014114: BEFE0114
	global_atomic_add_f32 v6, v82, s[8:9] offset:8             // 000000014118: DD348008 00085206
	global_atomic_add_f32 v6, v86, s[8:9] offset:264           // 000000014120: DD348108 00085606
	s_mov_b64 exec, s[36:37]                                   // 000000014128: BEFE0124
	v_mov_b32_e32 v6, v63                                      // 00000001412C: 7E0C033F
	s_mov_b64 s[60:61], 0                                      // 000000014130: BEBC0180
	v_readlane_b32 s82, v3, 2                                  // 000000014134: D2890052 00010503
	s_and_b32 s82, s82, 0xffffff                               // 00000001413C: 8652FF52 00FFFFFF
	s_cmp_lt_u32 s82, s66                                      // 000000014144: BF0A4252
	s_cselect_b32 s20, s36, s60                                // 000000014148: 85143C24
	v_readlane_b32 s82, v3, 3                                  // 00000001414C: D2890052 00010703
	s_and_b32 s82, s82, 0xffffff                               // 000000014154: 8652FF52 00FFFFFF
	s_cmp_lt_u32 s82, s66                                      // 00000001415C: BF0A4252
	s_cselect_b32 s21, s36, s60                                // 000000014160: 85153C24
	s_mov_b64 exec, s[20:21]                                   // 000000014164: BEFE0114
	global_atomic_add_f32 v6, v83, s[8:9] offset:8             // 000000014168: DD348008 00085306
	global_atomic_add_f32 v6, v87, s[8:9] offset:264           // 000000014170: DD348108 00085706
	s_mov_b64 exec, s[36:37]                                   // 000000014178: BEFE0124
	v_mov_b32_e32 v6, v64                                      // 00000001417C: 7E0C0340
	s_mov_b64 s[60:61], 0                                      // 000000014180: BEBC0180
	v_readlane_b32 s82, v3, 4                                  // 000000014184: D2890052 00010903
	s_and_b32 s82, s82, 0xffffff                               // 00000001418C: 8652FF52 00FFFFFF
	s_cmp_lt_u32 s82, s66                                      // 000000014194: BF0A4252
	s_cselect_b32 s20, s36, s60                                // 000000014198: 85143C24
	v_readlane_b32 s82, v3, 5                                  // 00000001419C: D2890052 00010B03
	s_and_b32 s82, s82, 0xffffff                               // 0000000141A4: 8652FF52 00FFFFFF
	s_cmp_lt_u32 s82, s66                                      // 0000000141AC: BF0A4252
	s_cselect_b32 s21, s36, s60                                // 0000000141B0: 85153C24
	s_mov_b64 exec, s[20:21]                                   // 0000000141B4: BEFE0114
	global_atomic_add_f32 v6, v90, s[8:9] offset:8             // 0000000141B8: DD348008 00085A06
	global_atomic_add_f32 v6, v94, s[8:9] offset:264           // 0000000141C0: DD348108 00085E06
	s_mov_b64 exec, s[36:37]                                   // 0000000141C8: BEFE0124
	v_mov_b32_e32 v6, v65                                      // 0000000141CC: 7E0C0341
	s_mov_b64 s[60:61], 0                                      // 0000000141D0: BEBC0180
	v_readlane_b32 s82, v3, 6                                  // 0000000141D4: D2890052 00010D03
	s_and_b32 s82, s82, 0xffffff                               // 0000000141DC: 8652FF52 00FFFFFF
	s_cmp_lt_u32 s82, s66                                      // 0000000141E4: BF0A4252
	s_cselect_b32 s20, s36, s60                                // 0000000141E8: 85143C24
	v_readlane_b32 s82, v3, 7                                  // 0000000141EC: D2890052 00010F03
	s_and_b32 s82, s82, 0xffffff                               // 0000000141F4: 8652FF52 00FFFFFF
	s_cmp_lt_u32 s82, s66                                      // 0000000141FC: BF0A4252
	s_cselect_b32 s21, s36, s60                                // 000000014200: 85153C24
	s_mov_b64 exec, s[20:21]                                   // 000000014204: BEFE0114
	global_atomic_add_f32 v6, v91, s[8:9] offset:8             // 000000014208: DD348008 00085B06
	global_atomic_add_f32 v6, v95, s[8:9] offset:264           // 000000014210: DD348108 00085F06
	s_mov_b64 exec, s[36:37]                                   // 000000014218: BEFE0124
	v_mov_b32_e32 v6, v66                                      // 00000001421C: 7E0C0342
	s_mov_b64 s[60:61], 0                                      // 000000014220: BEBC0180
	v_readlane_b32 s82, v3, 8                                  // 000000014224: D2890052 00011103
	s_and_b32 s82, s82, 0xffffff                               // 00000001422C: 8652FF52 00FFFFFF
	s_cmp_lt_u32 s82, s66                                      // 000000014234: BF0A4252
	s_cselect_b32 s20, s36, s60                                // 000000014238: 85143C24
	v_readlane_b32 s82, v3, 9                                  // 00000001423C: D2890052 00011303
	s_and_b32 s82, s82, 0xffffff                               // 000000014244: 8652FF52 00FFFFFF
	s_cmp_lt_u32 s82, s66                                      // 00000001424C: BF0A4252
	s_cselect_b32 s21, s36, s60                                // 000000014250: 85153C24
	s_mov_b64 exec, s[20:21]                                   // 000000014254: BEFE0114
	global_atomic_add_f32 v6, v98, s[8:9] offset:8             // 000000014258: DD348008 00086206
	global_atomic_add_f32 v6, v102, s[8:9] offset:264          // 000000014260: DD348108 00086606
	s_mov_b64 exec, s[36:37]                                   // 000000014268: BEFE0124
	v_mov_b32_e32 v6, v67                                      // 00000001426C: 7E0C0343
	s_mov_b64 s[60:61], 0                                      // 000000014270: BEBC0180
	v_readlane_b32 s82, v3, 10                                 // 000000014274: D2890052 00011503
	s_and_b32 s82, s82, 0xffffff                               // 00000001427C: 8652FF52 00FFFFFF
	s_cmp_lt_u32 s82, s66                                      // 000000014284: BF0A4252
	s_cselect_b32 s20, s36, s60                                // 000000014288: 85143C24
	v_readlane_b32 s82, v3, 11                                 // 00000001428C: D2890052 00011703
	s_and_b32 s82, s82, 0xffffff                               // 000000014294: 8652FF52 00FFFFFF
	s_cmp_lt_u32 s82, s66                                      // 00000001429C: BF0A4252
	s_cselect_b32 s21, s36, s60                                // 0000000142A0: 85153C24
	s_mov_b64 exec, s[20:21]                                   // 0000000142A4: BEFE0114
	global_atomic_add_f32 v6, v99, s[8:9] offset:8             // 0000000142A8: DD348008 00086306
	global_atomic_add_f32 v6, v103, s[8:9] offset:264          // 0000000142B0: DD348108 00086706
	s_mov_b64 exec, s[36:37]                                   // 0000000142B8: BEFE0124
	v_mov_b32_e32 v6, v68                                      // 0000000142BC: 7E0C0344
	s_mov_b64 s[60:61], 0                                      // 0000000142C0: BEBC0180
	v_readlane_b32 s82, v3, 12                                 // 0000000142C4: D2890052 00011903
	s_and_b32 s82, s82, 0xffffff                               // 0000000142CC: 8652FF52 00FFFFFF
	s_cmp_lt_u32 s82, s66                                      // 0000000142D4: BF0A4252
	s_cselect_b32 s20, s36, s60                                // 0000000142D8: 85143C24
	v_readlane_b32 s82, v3, 13                                 // 0000000142DC: D2890052 00011B03
	s_and_b32 s82, s82, 0xffffff                               // 0000000142E4: 8652FF52 00FFFFFF
	s_cmp_lt_u32 s82, s66                                      // 0000000142EC: BF0A4252
	s_cselect_b32 s21, s36, s60                                // 0000000142F0: 85153C24
	s_mov_b64 exec, s[20:21]                                   // 0000000142F4: BEFE0114
	global_atomic_add_f32 v6, v106, s[8:9] offset:8            // 0000000142F8: DD348008 00086A06
	global_atomic_add_f32 v6, v110, s[8:9] offset:264          // 000000014300: DD348108 00086E06
	s_mov_b64 exec, s[36:37]                                   // 000000014308: BEFE0124
	v_mov_b32_e32 v6, v69                                      // 00000001430C: 7E0C0345
	s_mov_b64 s[60:61], 0                                      // 000000014310: BEBC0180
	v_readlane_b32 s82, v3, 14                                 // 000000014314: D2890052 00011D03
	s_and_b32 s82, s82, 0xffffff                               // 00000001431C: 8652FF52 00FFFFFF
	s_cmp_lt_u32 s82, s66                                      // 000000014324: BF0A4252
	s_cselect_b32 s20, s36, s60                                // 000000014328: 85143C24
	v_readlane_b32 s82, v3, 15                                 // 00000001432C: D2890052 00011F03
	s_and_b32 s82, s82, 0xffffff                               // 000000014334: 8652FF52 00FFFFFF
	s_cmp_lt_u32 s82, s66                                      // 00000001433C: BF0A4252
	s_cselect_b32 s21, s36, s60                                // 000000014340: 85153C24
	s_mov_b64 exec, s[20:21]                                   // 000000014344: BEFE0114
	global_atomic_add_f32 v6, v107, s[8:9] offset:8            // 000000014348: DD348008 00086B06
	global_atomic_add_f32 v6, v111, s[8:9] offset:264          // 000000014350: DD348108 00086F06
	s_mov_b64 exec, s[36:37]                                   // 000000014358: BEFE0124
	v_mov_b32_e32 v6, v70                                      // 00000001435C: 7E0C0346
	s_mov_b64 s[60:61], 0                                      // 000000014360: BEBC0180
	v_readlane_b32 s82, v3, 16                                 // 000000014364: D2890052 00012103
	s_and_b32 s82, s82, 0xffffff                               // 00000001436C: 8652FF52 00FFFFFF
	s_cmp_lt_u32 s82, s66                                      // 000000014374: BF0A4252
	s_cselect_b32 s20, s36, s60                                // 000000014378: 85143C24
	v_readlane_b32 s82, v3, 17                                 // 00000001437C: D2890052 00012303
	s_and_b32 s82, s82, 0xffffff                               // 000000014384: 8652FF52 00FFFFFF
	s_cmp_lt_u32 s82, s66                                      // 00000001438C: BF0A4252
	s_cselect_b32 s21, s36, s60                                // 000000014390: 85153C24
	s_mov_b64 exec, s[20:21]                                   // 000000014394: BEFE0114
	global_atomic_add_f32 v6, v114, s[8:9] offset:8            // 000000014398: DD348008 00087206
	global_atomic_add_f32 v6, v118, s[8:9] offset:264          // 0000000143A0: DD348108 00087606
	s_mov_b64 exec, s[36:37]                                   // 0000000143A8: BEFE0124
	v_mov_b32_e32 v6, v71                                      // 0000000143AC: 7E0C0347
	s_mov_b64 s[60:61], 0                                      // 0000000143B0: BEBC0180
	v_readlane_b32 s82, v3, 18                                 // 0000000143B4: D2890052 00012503
	s_and_b32 s82, s82, 0xffffff                               // 0000000143BC: 8652FF52 00FFFFFF
	s_cmp_lt_u32 s82, s66                                      // 0000000143C4: BF0A4252
	s_cselect_b32 s20, s36, s60                                // 0000000143C8: 85143C24
	v_readlane_b32 s82, v3, 19                                 // 0000000143CC: D2890052 00012703
	s_and_b32 s82, s82, 0xffffff                               // 0000000143D4: 8652FF52 00FFFFFF
	s_cmp_lt_u32 s82, s66                                      // 0000000143DC: BF0A4252
	s_cselect_b32 s21, s36, s60                                // 0000000143E0: 85153C24
	s_mov_b64 exec, s[20:21]                                   // 0000000143E4: BEFE0114
	global_atomic_add_f32 v6, v115, s[8:9] offset:8            // 0000000143E8: DD348008 00087306
	global_atomic_add_f32 v6, v119, s[8:9] offset:264          // 0000000143F0: DD348108 00087706
	s_mov_b64 exec, s[36:37]                                   // 0000000143F8: BEFE0124
	v_mov_b32_e32 v6, v72                                      // 0000000143FC: 7E0C0348
	s_mov_b64 s[60:61], 0                                      // 000000014400: BEBC0180
	v_readlane_b32 s82, v3, 20                                 // 000000014404: D2890052 00012903
	s_and_b32 s82, s82, 0xffffff                               // 00000001440C: 8652FF52 00FFFFFF
	s_cmp_lt_u32 s82, s66                                      // 000000014414: BF0A4252
	s_cselect_b32 s20, s36, s60                                // 000000014418: 85143C24
	v_readlane_b32 s82, v3, 21                                 // 00000001441C: D2890052 00012B03
	s_and_b32 s82, s82, 0xffffff                               // 000000014424: 8652FF52 00FFFFFF
	s_cmp_lt_u32 s82, s66                                      // 00000001442C: BF0A4252
	s_cselect_b32 s21, s36, s60                                // 000000014430: 85153C24
	s_mov_b64 exec, s[20:21]                                   // 000000014434: BEFE0114
	global_atomic_add_f32 v6, v122, s[8:9] offset:8            // 000000014438: DD348008 00087A06
	global_atomic_add_f32 v6, v126, s[8:9] offset:264          // 000000014440: DD348108 00087E06
	s_mov_b64 exec, s[36:37]                                   // 000000014448: BEFE0124
	v_mov_b32_e32 v6, v73                                      // 00000001444C: 7E0C0349
	s_mov_b64 s[60:61], 0                                      // 000000014450: BEBC0180
	v_readlane_b32 s82, v3, 22                                 // 000000014454: D2890052 00012D03
	s_and_b32 s82, s82, 0xffffff                               // 00000001445C: 8652FF52 00FFFFFF
	s_cmp_lt_u32 s82, s66                                      // 000000014464: BF0A4252
	s_cselect_b32 s20, s36, s60                                // 000000014468: 85143C24
	v_readlane_b32 s82, v3, 23                                 // 00000001446C: D2890052 00012F03
	s_and_b32 s82, s82, 0xffffff                               // 000000014474: 8652FF52 00FFFFFF
	s_cmp_lt_u32 s82, s66                                      // 00000001447C: BF0A4252
	s_cselect_b32 s21, s36, s60                                // 000000014480: 85153C24
	s_mov_b64 exec, s[20:21]                                   // 000000014484: BEFE0114
	global_atomic_add_f32 v6, v123, s[8:9] offset:8            // 000000014488: DD348008 00087B06
	global_atomic_add_f32 v6, v127, s[8:9] offset:264          // 000000014490: DD348108 00087F06
	s_mov_b64 exec, s[36:37]                                   // 000000014498: BEFE0124
	v_mov_b32_e32 v6, v74                                      // 00000001449C: 7E0C034A
	s_mov_b64 s[60:61], 0                                      // 0000000144A0: BEBC0180
	v_readlane_b32 s82, v3, 24                                 // 0000000144A4: D2890052 00013103
	s_and_b32 s82, s82, 0xffffff                               // 0000000144AC: 8652FF52 00FFFFFF
	s_cmp_lt_u32 s82, s66                                      // 0000000144B4: BF0A4252
	s_cselect_b32 s20, s36, s60                                // 0000000144B8: 85143C24
	v_readlane_b32 s82, v3, 25                                 // 0000000144BC: D2890052 00013303
	s_and_b32 s82, s82, 0xffffff                               // 0000000144C4: 8652FF52 00FFFFFF
	s_cmp_lt_u32 s82, s66                                      // 0000000144CC: BF0A4252
	s_cselect_b32 s21, s36, s60                                // 0000000144D0: 85153C24
	s_mov_b64 exec, s[20:21]                                   // 0000000144D4: BEFE0114
	global_atomic_add_f32 v6, v130, s[8:9] offset:8            // 0000000144D8: DD348008 00088206
	global_atomic_add_f32 v6, v134, s[8:9] offset:264          // 0000000144E0: DD348108 00088606
	s_mov_b64 exec, s[36:37]                                   // 0000000144E8: BEFE0124
	v_mov_b32_e32 v6, v75                                      // 0000000144EC: 7E0C034B
	s_mov_b64 s[60:61], 0                                      // 0000000144F0: BEBC0180
	v_readlane_b32 s82, v3, 26                                 // 0000000144F4: D2890052 00013503
	s_and_b32 s82, s82, 0xffffff                               // 0000000144FC: 8652FF52 00FFFFFF
	s_cmp_lt_u32 s82, s66                                      // 000000014504: BF0A4252
	s_cselect_b32 s20, s36, s60                                // 000000014508: 85143C24
	v_readlane_b32 s82, v3, 27                                 // 00000001450C: D2890052 00013703
	s_and_b32 s82, s82, 0xffffff                               // 000000014514: 8652FF52 00FFFFFF
	s_cmp_lt_u32 s82, s66                                      // 00000001451C: BF0A4252
	s_cselect_b32 s21, s36, s60                                // 000000014520: 85153C24
	s_mov_b64 exec, s[20:21]                                   // 000000014524: BEFE0114
	global_atomic_add_f32 v6, v131, s[8:9] offset:8            // 000000014528: DD348008 00088306
	global_atomic_add_f32 v6, v135, s[8:9] offset:264          // 000000014530: DD348108 00088706
	s_mov_b64 exec, s[36:37]                                   // 000000014538: BEFE0124
	v_mov_b32_e32 v6, v76                                      // 00000001453C: 7E0C034C
	s_mov_b64 s[60:61], 0                                      // 000000014540: BEBC0180
	v_readlane_b32 s82, v3, 28                                 // 000000014544: D2890052 00013903
	s_and_b32 s82, s82, 0xffffff                               // 00000001454C: 8652FF52 00FFFFFF
	s_cmp_lt_u32 s82, s66                                      // 000000014554: BF0A4252
	s_cselect_b32 s20, s36, s60                                // 000000014558: 85143C24
	v_readlane_b32 s82, v3, 29                                 // 00000001455C: D2890052 00013B03
	s_and_b32 s82, s82, 0xffffff                               // 000000014564: 8652FF52 00FFFFFF
	s_cmp_lt_u32 s82, s66                                      // 00000001456C: BF0A4252
	s_cselect_b32 s21, s36, s60                                // 000000014570: 85153C24
	s_mov_b64 exec, s[20:21]                                   // 000000014574: BEFE0114
	global_atomic_add_f32 v6, v138, s[8:9] offset:8            // 000000014578: DD348008 00088A06
	global_atomic_add_f32 v6, v142, s[8:9] offset:264          // 000000014580: DD348108 00088E06
	s_mov_b64 exec, s[36:37]                                   // 000000014588: BEFE0124
	v_mov_b32_e32 v6, v77                                      // 00000001458C: 7E0C034D
	s_mov_b64 s[60:61], 0                                      // 000000014590: BEBC0180
	v_readlane_b32 s82, v3, 30                                 // 000000014594: D2890052 00013D03
	s_and_b32 s82, s82, 0xffffff                               // 00000001459C: 8652FF52 00FFFFFF
	s_cmp_lt_u32 s82, s66                                      // 0000000145A4: BF0A4252
	s_cselect_b32 s20, s36, s60                                // 0000000145A8: 85143C24
	v_readlane_b32 s82, v3, 31                                 // 0000000145AC: D2890052 00013F03
	s_and_b32 s82, s82, 0xffffff                               // 0000000145B4: 8652FF52 00FFFFFF
	s_cmp_lt_u32 s82, s66                                      // 0000000145BC: BF0A4252
	s_cselect_b32 s21, s36, s60                                // 0000000145C0: 85153C24
	s_mov_b64 exec, s[20:21]                                   // 0000000145C4: BEFE0114
	global_atomic_add_f32 v6, v139, s[8:9] offset:8            // 0000000145C8: DD348008 00088B06
	global_atomic_add_f32 v6, v143, s[8:9] offset:264          // 0000000145D0: DD348108 00088F06
	s_mov_b64 exec, s[36:37]                                   // 0000000145D8: BEFE0124
	ds_write_b64 v20, v[144:145]                               // 0000000145DC: D89A0000 00009014
	ds_write_b64 v20, v[148:149] offset:4352                   // 0000000145E4: D89A1100 00009414
	ds_write_b64 v20, v[152:153] offset:8704                   // 0000000145EC: D89A2200 00009814
	ds_write_b64 v20, v[156:157] offset:13056                  // 0000000145F4: D89A3300 00009C14
	ds_write_b64 v20, v[160:161] offset:17408                  // 0000000145FC: D89A4400 0000A014
	ds_write_b64 v20, v[164:165] offset:21760                  // 000000014604: D89A5500 0000A414
	ds_write_b64 v20, v[168:169] offset:26112                  // 00000001460C: D89A6600 0000A814
	ds_write_b64 v20, v[172:173] offset:30464                  // 000000014614: D89A7700 0000AC14
	ds_write_b64 v20, v[176:177] offset:2176                   // 00000001461C: D89A0880 0000B014
	ds_write_b64 v20, v[180:181] offset:6528                   // 000000014624: D89A1980 0000B414
	ds_write_b64 v20, v[184:185] offset:10880                  // 00000001462C: D89A2A80 0000B814
	ds_write_b64 v20, v[188:189] offset:15232                  // 000000014634: D89A3B80 0000BC14
	ds_write_b64 v20, v[192:193] offset:19584                  // 00000001463C: D89A4C80 0000C014
	ds_write_b64 v20, v[196:197] offset:23936                  // 000000014644: D89A5D80 0000C414
	ds_write_b64 v20, v[200:201] offset:28288                  // 00000001464C: D89A6E80 0000C814
	ds_write_b64 v20, v[204:205] offset:32640                  // 000000014654: D89A7F80 0000CC14
	s_waitcnt lgkmcnt(0)                                       // 00000001465C: BF8CC07F
	s_barrier                                                  // 000000014660: BF8A0000
	ds_read_b32 v144, v21                                      // 000000014664: D86C0000 90000015
	ds_read_b32 v145, v21 offset:64                            // 00000001466C: D86C0040 91000015
	ds_read_b32 v148, v21 offset:2176                          // 000000014674: D86C0880 94000015
	ds_read_b32 v149, v21 offset:2240                          // 00000001467C: D86C08C0 95000015
	ds_read_b32 v152, v21 offset:4352                          // 000000014684: D86C1100 98000015
	ds_read_b32 v153, v21 offset:4416                          // 00000001468C: D86C1140 99000015
	ds_read_b32 v156, v21 offset:6528                          // 000000014694: D86C1980 9C000015
	ds_read_b32 v157, v21 offset:6592                          // 00000001469C: D86C19C0 9D000015
	ds_read_b32 v160, v21 offset:8704                          // 0000000146A4: D86C2200 A0000015
	ds_read_b32 v161, v21 offset:8768                          // 0000000146AC: D86C2240 A1000015
	ds_read_b32 v164, v21 offset:10880                         // 0000000146B4: D86C2A80 A4000015
	ds_read_b32 v165, v21 offset:10944                         // 0000000146BC: D86C2AC0 A5000015
	ds_read_b32 v168, v21 offset:13056                         // 0000000146C4: D86C3300 A8000015
	ds_read_b32 v169, v21 offset:13120                         // 0000000146CC: D86C3340 A9000015
	ds_read_b32 v172, v21 offset:15232                         // 0000000146D4: D86C3B80 AC000015
	ds_read_b32 v173, v21 offset:15296                         // 0000000146DC: D86C3BC0 AD000015
	ds_read_b32 v176, v21 offset:17408                         // 0000000146E4: D86C4400 B0000015
	ds_read_b32 v177, v21 offset:17472                         // 0000000146EC: D86C4440 B1000015
	ds_read_b32 v180, v21 offset:19584                         // 0000000146F4: D86C4C80 B4000015
	ds_read_b32 v181, v21 offset:19648                         // 0000000146FC: D86C4CC0 B5000015
	ds_read_b32 v184, v21 offset:21760                         // 000000014704: D86C5500 B8000015
	ds_read_b32 v185, v21 offset:21824                         // 00000001470C: D86C5540 B9000015
	ds_read_b32 v188, v21 offset:23936                         // 000000014714: D86C5D80 BC000015
	ds_read_b32 v189, v21 offset:24000                         // 00000001471C: D86C5DC0 BD000015
	ds_read_b32 v192, v21 offset:26112                         // 000000014724: D86C6600 C0000015
	ds_read_b32 v193, v21 offset:26176                         // 00000001472C: D86C6640 C1000015
	ds_read_b32 v196, v21 offset:28288                         // 000000014734: D86C6E80 C4000015
	ds_read_b32 v197, v21 offset:28352                         // 00000001473C: D86C6EC0 C5000015
	ds_read_b32 v200, v21 offset:30464                         // 000000014744: D86C7700 C8000015
	ds_read_b32 v201, v21 offset:30528                         // 00000001474C: D86C7740 C9000015
	ds_read_b32 v204, v21 offset:32640                         // 000000014754: D86C7F80 CC000015
	ds_read_b32 v205, v21 offset:32704                         // 00000001475C: D86C7FC0 CD000015
	s_mul_i32 s60, s65, 4                                      // 000000014764: 923C8441
	s_add_u32 s8, s60, s8                                      // 000000014768: 8008083C
	s_addc_u32 s9, 0, s9                                       // 00000001476C: 82090980
	s_waitcnt lgkmcnt(0)                                       // 000000014770: BF8CC07F
	v_mov_b32_e32 v7, 0                                        // 000000014774: 7E0E0280
	s_mov_b64 exec, s[36:37]                                   // 000000014778: BEFE0124
	v_mov_b32_e32 v6, v62                                      // 00000001477C: 7E0C033E
	s_mov_b64 s[60:61], 0                                      // 000000014780: BEBC0180
	v_readlane_b32 s82, v3, 0                                  // 000000014784: D2890052 00010103
	s_and_b32 s82, s82, 0xffffff                               // 00000001478C: 8652FF52 00FFFFFF
	s_cmp_lt_u32 s82, s66                                      // 000000014794: BF0A4252
	s_cselect_b32 s20, s36, s60                                // 000000014798: 85143C24
	v_readlane_b32 s82, v3, 1                                  // 00000001479C: D2890052 00010303
	s_and_b32 s82, s82, 0xffffff                               // 0000000147A4: 8652FF52 00FFFFFF
	s_cmp_lt_u32 s82, s66                                      // 0000000147AC: BF0A4252
	s_cselect_b32 s21, s36, s60                                // 0000000147B0: 85153C24
	s_mov_b64 exec, s[20:21]                                   // 0000000147B4: BEFE0114
	global_atomic_add_f32 v6, v144, s[8:9]                     // 0000000147B8: DD348000 00089006
	global_atomic_add_f32 v6, v148, s[8:9] offset:256          // 0000000147C0: DD348100 00089406
	s_mov_b64 exec, s[36:37]                                   // 0000000147C8: BEFE0124
	v_mov_b32_e32 v6, v63                                      // 0000000147CC: 7E0C033F
	s_mov_b64 s[60:61], 0                                      // 0000000147D0: BEBC0180
	v_readlane_b32 s82, v3, 2                                  // 0000000147D4: D2890052 00010503
	s_and_b32 s82, s82, 0xffffff                               // 0000000147DC: 8652FF52 00FFFFFF
	s_cmp_lt_u32 s82, s66                                      // 0000000147E4: BF0A4252
	s_cselect_b32 s20, s36, s60                                // 0000000147E8: 85143C24
	v_readlane_b32 s82, v3, 3                                  // 0000000147EC: D2890052 00010703
	s_and_b32 s82, s82, 0xffffff                               // 0000000147F4: 8652FF52 00FFFFFF
	s_cmp_lt_u32 s82, s66                                      // 0000000147FC: BF0A4252
	s_cselect_b32 s21, s36, s60                                // 000000014800: 85153C24
	s_mov_b64 exec, s[20:21]                                   // 000000014804: BEFE0114
	global_atomic_add_f32 v6, v145, s[8:9]                     // 000000014808: DD348000 00089106
	global_atomic_add_f32 v6, v149, s[8:9] offset:256          // 000000014810: DD348100 00089506
	s_mov_b64 exec, s[36:37]                                   // 000000014818: BEFE0124
	v_mov_b32_e32 v6, v64                                      // 00000001481C: 7E0C0340
	s_mov_b64 s[60:61], 0                                      // 000000014820: BEBC0180
	v_readlane_b32 s82, v3, 4                                  // 000000014824: D2890052 00010903
	s_and_b32 s82, s82, 0xffffff                               // 00000001482C: 8652FF52 00FFFFFF
	s_cmp_lt_u32 s82, s66                                      // 000000014834: BF0A4252
	s_cselect_b32 s20, s36, s60                                // 000000014838: 85143C24
	v_readlane_b32 s82, v3, 5                                  // 00000001483C: D2890052 00010B03
	s_and_b32 s82, s82, 0xffffff                               // 000000014844: 8652FF52 00FFFFFF
	s_cmp_lt_u32 s82, s66                                      // 00000001484C: BF0A4252
	s_cselect_b32 s21, s36, s60                                // 000000014850: 85153C24
	s_mov_b64 exec, s[20:21]                                   // 000000014854: BEFE0114
	global_atomic_add_f32 v6, v152, s[8:9]                     // 000000014858: DD348000 00089806
	global_atomic_add_f32 v6, v156, s[8:9] offset:256          // 000000014860: DD348100 00089C06
	s_mov_b64 exec, s[36:37]                                   // 000000014868: BEFE0124
	v_mov_b32_e32 v6, v65                                      // 00000001486C: 7E0C0341
	s_mov_b64 s[60:61], 0                                      // 000000014870: BEBC0180
	v_readlane_b32 s82, v3, 6                                  // 000000014874: D2890052 00010D03
	s_and_b32 s82, s82, 0xffffff                               // 00000001487C: 8652FF52 00FFFFFF
	s_cmp_lt_u32 s82, s66                                      // 000000014884: BF0A4252
	s_cselect_b32 s20, s36, s60                                // 000000014888: 85143C24
	v_readlane_b32 s82, v3, 7                                  // 00000001488C: D2890052 00010F03
	s_and_b32 s82, s82, 0xffffff                               // 000000014894: 8652FF52 00FFFFFF
	s_cmp_lt_u32 s82, s66                                      // 00000001489C: BF0A4252
	s_cselect_b32 s21, s36, s60                                // 0000000148A0: 85153C24
	s_mov_b64 exec, s[20:21]                                   // 0000000148A4: BEFE0114
	global_atomic_add_f32 v6, v153, s[8:9]                     // 0000000148A8: DD348000 00089906
	global_atomic_add_f32 v6, v157, s[8:9] offset:256          // 0000000148B0: DD348100 00089D06
	s_mov_b64 exec, s[36:37]                                   // 0000000148B8: BEFE0124
	v_mov_b32_e32 v6, v66                                      // 0000000148BC: 7E0C0342
	s_mov_b64 s[60:61], 0                                      // 0000000148C0: BEBC0180
	v_readlane_b32 s82, v3, 8                                  // 0000000148C4: D2890052 00011103
	s_and_b32 s82, s82, 0xffffff                               // 0000000148CC: 8652FF52 00FFFFFF
	s_cmp_lt_u32 s82, s66                                      // 0000000148D4: BF0A4252
	s_cselect_b32 s20, s36, s60                                // 0000000148D8: 85143C24
	v_readlane_b32 s82, v3, 9                                  // 0000000148DC: D2890052 00011303
	s_and_b32 s82, s82, 0xffffff                               // 0000000148E4: 8652FF52 00FFFFFF
	s_cmp_lt_u32 s82, s66                                      // 0000000148EC: BF0A4252
	s_cselect_b32 s21, s36, s60                                // 0000000148F0: 85153C24
	s_mov_b64 exec, s[20:21]                                   // 0000000148F4: BEFE0114
	global_atomic_add_f32 v6, v160, s[8:9]                     // 0000000148F8: DD348000 0008A006
	global_atomic_add_f32 v6, v164, s[8:9] offset:256          // 000000014900: DD348100 0008A406
	s_mov_b64 exec, s[36:37]                                   // 000000014908: BEFE0124
	v_mov_b32_e32 v6, v67                                      // 00000001490C: 7E0C0343
	s_mov_b64 s[60:61], 0                                      // 000000014910: BEBC0180
	v_readlane_b32 s82, v3, 10                                 // 000000014914: D2890052 00011503
	s_and_b32 s82, s82, 0xffffff                               // 00000001491C: 8652FF52 00FFFFFF
	s_cmp_lt_u32 s82, s66                                      // 000000014924: BF0A4252
	s_cselect_b32 s20, s36, s60                                // 000000014928: 85143C24
	v_readlane_b32 s82, v3, 11                                 // 00000001492C: D2890052 00011703
	s_and_b32 s82, s82, 0xffffff                               // 000000014934: 8652FF52 00FFFFFF
	s_cmp_lt_u32 s82, s66                                      // 00000001493C: BF0A4252
	s_cselect_b32 s21, s36, s60                                // 000000014940: 85153C24
	s_mov_b64 exec, s[20:21]                                   // 000000014944: BEFE0114
	global_atomic_add_f32 v6, v161, s[8:9]                     // 000000014948: DD348000 0008A106
	global_atomic_add_f32 v6, v165, s[8:9] offset:256          // 000000014950: DD348100 0008A506
	s_mov_b64 exec, s[36:37]                                   // 000000014958: BEFE0124
	v_mov_b32_e32 v6, v68                                      // 00000001495C: 7E0C0344
	s_mov_b64 s[60:61], 0                                      // 000000014960: BEBC0180
	v_readlane_b32 s82, v3, 12                                 // 000000014964: D2890052 00011903
	s_and_b32 s82, s82, 0xffffff                               // 00000001496C: 8652FF52 00FFFFFF
	s_cmp_lt_u32 s82, s66                                      // 000000014974: BF0A4252
	s_cselect_b32 s20, s36, s60                                // 000000014978: 85143C24
	v_readlane_b32 s82, v3, 13                                 // 00000001497C: D2890052 00011B03
	s_and_b32 s82, s82, 0xffffff                               // 000000014984: 8652FF52 00FFFFFF
	s_cmp_lt_u32 s82, s66                                      // 00000001498C: BF0A4252
	s_cselect_b32 s21, s36, s60                                // 000000014990: 85153C24
	s_mov_b64 exec, s[20:21]                                   // 000000014994: BEFE0114
	global_atomic_add_f32 v6, v168, s[8:9]                     // 000000014998: DD348000 0008A806
	global_atomic_add_f32 v6, v172, s[8:9] offset:256          // 0000000149A0: DD348100 0008AC06
	s_mov_b64 exec, s[36:37]                                   // 0000000149A8: BEFE0124
	v_mov_b32_e32 v6, v69                                      // 0000000149AC: 7E0C0345
	s_mov_b64 s[60:61], 0                                      // 0000000149B0: BEBC0180
	v_readlane_b32 s82, v3, 14                                 // 0000000149B4: D2890052 00011D03
	s_and_b32 s82, s82, 0xffffff                               // 0000000149BC: 8652FF52 00FFFFFF
	s_cmp_lt_u32 s82, s66                                      // 0000000149C4: BF0A4252
	s_cselect_b32 s20, s36, s60                                // 0000000149C8: 85143C24
	v_readlane_b32 s82, v3, 15                                 // 0000000149CC: D2890052 00011F03
	s_and_b32 s82, s82, 0xffffff                               // 0000000149D4: 8652FF52 00FFFFFF
	s_cmp_lt_u32 s82, s66                                      // 0000000149DC: BF0A4252
	s_cselect_b32 s21, s36, s60                                // 0000000149E0: 85153C24
	s_mov_b64 exec, s[20:21]                                   // 0000000149E4: BEFE0114
	global_atomic_add_f32 v6, v169, s[8:9]                     // 0000000149E8: DD348000 0008A906
	global_atomic_add_f32 v6, v173, s[8:9] offset:256          // 0000000149F0: DD348100 0008AD06
	s_mov_b64 exec, s[36:37]                                   // 0000000149F8: BEFE0124
	v_mov_b32_e32 v6, v70                                      // 0000000149FC: 7E0C0346
	s_mov_b64 s[60:61], 0                                      // 000000014A00: BEBC0180
	v_readlane_b32 s82, v3, 16                                 // 000000014A04: D2890052 00012103
	s_and_b32 s82, s82, 0xffffff                               // 000000014A0C: 8652FF52 00FFFFFF
	s_cmp_lt_u32 s82, s66                                      // 000000014A14: BF0A4252
	s_cselect_b32 s20, s36, s60                                // 000000014A18: 85143C24
	v_readlane_b32 s82, v3, 17                                 // 000000014A1C: D2890052 00012303
	s_and_b32 s82, s82, 0xffffff                               // 000000014A24: 8652FF52 00FFFFFF
	s_cmp_lt_u32 s82, s66                                      // 000000014A2C: BF0A4252
	s_cselect_b32 s21, s36, s60                                // 000000014A30: 85153C24
	s_mov_b64 exec, s[20:21]                                   // 000000014A34: BEFE0114
	global_atomic_add_f32 v6, v176, s[8:9]                     // 000000014A38: DD348000 0008B006
	global_atomic_add_f32 v6, v180, s[8:9] offset:256          // 000000014A40: DD348100 0008B406
	s_mov_b64 exec, s[36:37]                                   // 000000014A48: BEFE0124
	v_mov_b32_e32 v6, v71                                      // 000000014A4C: 7E0C0347
	s_mov_b64 s[60:61], 0                                      // 000000014A50: BEBC0180
	v_readlane_b32 s82, v3, 18                                 // 000000014A54: D2890052 00012503
	s_and_b32 s82, s82, 0xffffff                               // 000000014A5C: 8652FF52 00FFFFFF
	s_cmp_lt_u32 s82, s66                                      // 000000014A64: BF0A4252
	s_cselect_b32 s20, s36, s60                                // 000000014A68: 85143C24
	v_readlane_b32 s82, v3, 19                                 // 000000014A6C: D2890052 00012703
	s_and_b32 s82, s82, 0xffffff                               // 000000014A74: 8652FF52 00FFFFFF
	s_cmp_lt_u32 s82, s66                                      // 000000014A7C: BF0A4252
	s_cselect_b32 s21, s36, s60                                // 000000014A80: 85153C24
	s_mov_b64 exec, s[20:21]                                   // 000000014A84: BEFE0114
	global_atomic_add_f32 v6, v177, s[8:9]                     // 000000014A88: DD348000 0008B106
	global_atomic_add_f32 v6, v181, s[8:9] offset:256          // 000000014A90: DD348100 0008B506
	s_mov_b64 exec, s[36:37]                                   // 000000014A98: BEFE0124
	v_mov_b32_e32 v6, v72                                      // 000000014A9C: 7E0C0348
	s_mov_b64 s[60:61], 0                                      // 000000014AA0: BEBC0180
	v_readlane_b32 s82, v3, 20                                 // 000000014AA4: D2890052 00012903
	s_and_b32 s82, s82, 0xffffff                               // 000000014AAC: 8652FF52 00FFFFFF
	s_cmp_lt_u32 s82, s66                                      // 000000014AB4: BF0A4252
	s_cselect_b32 s20, s36, s60                                // 000000014AB8: 85143C24
	v_readlane_b32 s82, v3, 21                                 // 000000014ABC: D2890052 00012B03
	s_and_b32 s82, s82, 0xffffff                               // 000000014AC4: 8652FF52 00FFFFFF
	s_cmp_lt_u32 s82, s66                                      // 000000014ACC: BF0A4252
	s_cselect_b32 s21, s36, s60                                // 000000014AD0: 85153C24
	s_mov_b64 exec, s[20:21]                                   // 000000014AD4: BEFE0114
	global_atomic_add_f32 v6, v184, s[8:9]                     // 000000014AD8: DD348000 0008B806
	global_atomic_add_f32 v6, v188, s[8:9] offset:256          // 000000014AE0: DD348100 0008BC06
	s_mov_b64 exec, s[36:37]                                   // 000000014AE8: BEFE0124
	v_mov_b32_e32 v6, v73                                      // 000000014AEC: 7E0C0349
	s_mov_b64 s[60:61], 0                                      // 000000014AF0: BEBC0180
	v_readlane_b32 s82, v3, 22                                 // 000000014AF4: D2890052 00012D03
	s_and_b32 s82, s82, 0xffffff                               // 000000014AFC: 8652FF52 00FFFFFF
	s_cmp_lt_u32 s82, s66                                      // 000000014B04: BF0A4252
	s_cselect_b32 s20, s36, s60                                // 000000014B08: 85143C24
	v_readlane_b32 s82, v3, 23                                 // 000000014B0C: D2890052 00012F03
	s_and_b32 s82, s82, 0xffffff                               // 000000014B14: 8652FF52 00FFFFFF
	s_cmp_lt_u32 s82, s66                                      // 000000014B1C: BF0A4252
	s_cselect_b32 s21, s36, s60                                // 000000014B20: 85153C24
	s_mov_b64 exec, s[20:21]                                   // 000000014B24: BEFE0114
	global_atomic_add_f32 v6, v185, s[8:9]                     // 000000014B28: DD348000 0008B906
	global_atomic_add_f32 v6, v189, s[8:9] offset:256          // 000000014B30: DD348100 0008BD06
	s_mov_b64 exec, s[36:37]                                   // 000000014B38: BEFE0124
	v_mov_b32_e32 v6, v74                                      // 000000014B3C: 7E0C034A
	s_mov_b64 s[60:61], 0                                      // 000000014B40: BEBC0180
	v_readlane_b32 s82, v3, 24                                 // 000000014B44: D2890052 00013103
	s_and_b32 s82, s82, 0xffffff                               // 000000014B4C: 8652FF52 00FFFFFF
	s_cmp_lt_u32 s82, s66                                      // 000000014B54: BF0A4252
	s_cselect_b32 s20, s36, s60                                // 000000014B58: 85143C24
	v_readlane_b32 s82, v3, 25                                 // 000000014B5C: D2890052 00013303
	s_and_b32 s82, s82, 0xffffff                               // 000000014B64: 8652FF52 00FFFFFF
	s_cmp_lt_u32 s82, s66                                      // 000000014B6C: BF0A4252
	s_cselect_b32 s21, s36, s60                                // 000000014B70: 85153C24
	s_mov_b64 exec, s[20:21]                                   // 000000014B74: BEFE0114
	global_atomic_add_f32 v6, v192, s[8:9]                     // 000000014B78: DD348000 0008C006
	global_atomic_add_f32 v6, v196, s[8:9] offset:256          // 000000014B80: DD348100 0008C406
	s_mov_b64 exec, s[36:37]                                   // 000000014B88: BEFE0124
	v_mov_b32_e32 v6, v75                                      // 000000014B8C: 7E0C034B
	s_mov_b64 s[60:61], 0                                      // 000000014B90: BEBC0180
	v_readlane_b32 s82, v3, 26                                 // 000000014B94: D2890052 00013503
	s_and_b32 s82, s82, 0xffffff                               // 000000014B9C: 8652FF52 00FFFFFF
	s_cmp_lt_u32 s82, s66                                      // 000000014BA4: BF0A4252
	s_cselect_b32 s20, s36, s60                                // 000000014BA8: 85143C24
	v_readlane_b32 s82, v3, 27                                 // 000000014BAC: D2890052 00013703
	s_and_b32 s82, s82, 0xffffff                               // 000000014BB4: 8652FF52 00FFFFFF
	s_cmp_lt_u32 s82, s66                                      // 000000014BBC: BF0A4252
	s_cselect_b32 s21, s36, s60                                // 000000014BC0: 85153C24
	s_mov_b64 exec, s[20:21]                                   // 000000014BC4: BEFE0114
	global_atomic_add_f32 v6, v193, s[8:9]                     // 000000014BC8: DD348000 0008C106
	global_atomic_add_f32 v6, v197, s[8:9] offset:256          // 000000014BD0: DD348100 0008C506
	s_mov_b64 exec, s[36:37]                                   // 000000014BD8: BEFE0124
	v_mov_b32_e32 v6, v76                                      // 000000014BDC: 7E0C034C
	s_mov_b64 s[60:61], 0                                      // 000000014BE0: BEBC0180
	v_readlane_b32 s82, v3, 28                                 // 000000014BE4: D2890052 00013903
	s_and_b32 s82, s82, 0xffffff                               // 000000014BEC: 8652FF52 00FFFFFF
	s_cmp_lt_u32 s82, s66                                      // 000000014BF4: BF0A4252
	s_cselect_b32 s20, s36, s60                                // 000000014BF8: 85143C24
	v_readlane_b32 s82, v3, 29                                 // 000000014BFC: D2890052 00013B03
	s_and_b32 s82, s82, 0xffffff                               // 000000014C04: 8652FF52 00FFFFFF
	s_cmp_lt_u32 s82, s66                                      // 000000014C0C: BF0A4252
	s_cselect_b32 s21, s36, s60                                // 000000014C10: 85153C24
	s_mov_b64 exec, s[20:21]                                   // 000000014C14: BEFE0114
	global_atomic_add_f32 v6, v200, s[8:9]                     // 000000014C18: DD348000 0008C806
	global_atomic_add_f32 v6, v204, s[8:9] offset:256          // 000000014C20: DD348100 0008CC06
	s_mov_b64 exec, s[36:37]                                   // 000000014C28: BEFE0124
	v_mov_b32_e32 v6, v77                                      // 000000014C2C: 7E0C034D
	s_mov_b64 s[60:61], 0                                      // 000000014C30: BEBC0180
	v_readlane_b32 s82, v3, 30                                 // 000000014C34: D2890052 00013D03
	s_and_b32 s82, s82, 0xffffff                               // 000000014C3C: 8652FF52 00FFFFFF
	s_cmp_lt_u32 s82, s66                                      // 000000014C44: BF0A4252
	s_cselect_b32 s20, s36, s60                                // 000000014C48: 85143C24
	v_readlane_b32 s82, v3, 31                                 // 000000014C4C: D2890052 00013F03
	s_and_b32 s82, s82, 0xffffff                               // 000000014C54: 8652FF52 00FFFFFF
	s_cmp_lt_u32 s82, s66                                      // 000000014C5C: BF0A4252
	s_cselect_b32 s21, s36, s60                                // 000000014C60: 85153C24
	s_mov_b64 exec, s[20:21]                                   // 000000014C64: BEFE0114
	global_atomic_add_f32 v6, v201, s[8:9]                     // 000000014C68: DD348000 0008C906
	global_atomic_add_f32 v6, v205, s[8:9] offset:256          // 000000014C70: DD348100 0008CD06
	s_mov_b64 exec, s[36:37]                                   // 000000014C78: BEFE0124
	ds_write_b64 v20, v[146:147]                               // 000000014C7C: D89A0000 00009214
	ds_write_b64 v20, v[150:151] offset:4352                   // 000000014C84: D89A1100 00009614
	ds_write_b64 v20, v[154:155] offset:8704                   // 000000014C8C: D89A2200 00009A14
	ds_write_b64 v20, v[158:159] offset:13056                  // 000000014C94: D89A3300 00009E14
	ds_write_b64 v20, v[162:163] offset:17408                  // 000000014C9C: D89A4400 0000A214
	ds_write_b64 v20, v[166:167] offset:21760                  // 000000014CA4: D89A5500 0000A614
	ds_write_b64 v20, v[170:171] offset:26112                  // 000000014CAC: D89A6600 0000AA14
	ds_write_b64 v20, v[174:175] offset:30464                  // 000000014CB4: D89A7700 0000AE14
	ds_write_b64 v20, v[178:179] offset:2176                   // 000000014CBC: D89A0880 0000B214
	ds_write_b64 v20, v[182:183] offset:6528                   // 000000014CC4: D89A1980 0000B614
	ds_write_b64 v20, v[186:187] offset:10880                  // 000000014CCC: D89A2A80 0000BA14
	ds_write_b64 v20, v[190:191] offset:15232                  // 000000014CD4: D89A3B80 0000BE14
	ds_write_b64 v20, v[194:195] offset:19584                  // 000000014CDC: D89A4C80 0000C214
	ds_write_b64 v20, v[198:199] offset:23936                  // 000000014CE4: D89A5D80 0000C614
	ds_write_b64 v20, v[202:203] offset:28288                  // 000000014CEC: D89A6E80 0000CA14
	ds_write_b64 v20, v[206:207] offset:32640                  // 000000014CF4: D89A7F80 0000CE14
	s_waitcnt lgkmcnt(0)                                       // 000000014CFC: BF8CC07F
	s_barrier                                                  // 000000014D00: BF8A0000
	ds_read_b32 v146, v21                                      // 000000014D04: D86C0000 92000015
	ds_read_b32 v147, v21 offset:64                            // 000000014D0C: D86C0040 93000015
	ds_read_b32 v150, v21 offset:2176                          // 000000014D14: D86C0880 96000015
	ds_read_b32 v151, v21 offset:2240                          // 000000014D1C: D86C08C0 97000015
	ds_read_b32 v154, v21 offset:4352                          // 000000014D24: D86C1100 9A000015
	ds_read_b32 v155, v21 offset:4416                          // 000000014D2C: D86C1140 9B000015
	ds_read_b32 v158, v21 offset:6528                          // 000000014D34: D86C1980 9E000015
	ds_read_b32 v159, v21 offset:6592                          // 000000014D3C: D86C19C0 9F000015
	ds_read_b32 v162, v21 offset:8704                          // 000000014D44: D86C2200 A2000015
	ds_read_b32 v163, v21 offset:8768                          // 000000014D4C: D86C2240 A3000015
	ds_read_b32 v166, v21 offset:10880                         // 000000014D54: D86C2A80 A6000015
	ds_read_b32 v167, v21 offset:10944                         // 000000014D5C: D86C2AC0 A7000015
	ds_read_b32 v170, v21 offset:13056                         // 000000014D64: D86C3300 AA000015
	ds_read_b32 v171, v21 offset:13120                         // 000000014D6C: D86C3340 AB000015
	ds_read_b32 v174, v21 offset:15232                         // 000000014D74: D86C3B80 AE000015
	ds_read_b32 v175, v21 offset:15296                         // 000000014D7C: D86C3BC0 AF000015
	ds_read_b32 v178, v21 offset:17408                         // 000000014D84: D86C4400 B2000015
	ds_read_b32 v179, v21 offset:17472                         // 000000014D8C: D86C4440 B3000015
	ds_read_b32 v182, v21 offset:19584                         // 000000014D94: D86C4C80 B6000015
	ds_read_b32 v183, v21 offset:19648                         // 000000014D9C: D86C4CC0 B7000015
	ds_read_b32 v186, v21 offset:21760                         // 000000014DA4: D86C5500 BA000015
	ds_read_b32 v187, v21 offset:21824                         // 000000014DAC: D86C5540 BB000015
	ds_read_b32 v190, v21 offset:23936                         // 000000014DB4: D86C5D80 BE000015
	ds_read_b32 v191, v21 offset:24000                         // 000000014DBC: D86C5DC0 BF000015
	ds_read_b32 v194, v21 offset:26112                         // 000000014DC4: D86C6600 C2000015
	ds_read_b32 v195, v21 offset:26176                         // 000000014DCC: D86C6640 C3000015
	ds_read_b32 v198, v21 offset:28288                         // 000000014DD4: D86C6E80 C6000015
	ds_read_b32 v199, v21 offset:28352                         // 000000014DDC: D86C6EC0 C7000015
	ds_read_b32 v202, v21 offset:30464                         // 000000014DE4: D86C7700 CA000015
	ds_read_b32 v203, v21 offset:30528                         // 000000014DEC: D86C7740 CB000015
	ds_read_b32 v206, v21 offset:32640                         // 000000014DF4: D86C7F80 CE000015
	ds_read_b32 v207, v21 offset:32704                         // 000000014DFC: D86C7FC0 CF000015
	s_waitcnt lgkmcnt(0)                                       // 000000014E04: BF8CC07F
	v_mov_b32_e32 v7, 0                                        // 000000014E08: 7E0E0280
	s_mov_b64 exec, s[36:37]                                   // 000000014E0C: BEFE0124
	v_mov_b32_e32 v6, v62                                      // 000000014E10: 7E0C033E
	s_mov_b64 s[60:61], 0                                      // 000000014E14: BEBC0180
	v_readlane_b32 s82, v3, 0                                  // 000000014E18: D2890052 00010103
	s_and_b32 s82, s82, 0xffffff                               // 000000014E20: 8652FF52 00FFFFFF
	s_cmp_lt_u32 s82, s66                                      // 000000014E28: BF0A4252
	s_cselect_b32 s20, s36, s60                                // 000000014E2C: 85143C24
	v_readlane_b32 s82, v3, 1                                  // 000000014E30: D2890052 00010303
	s_and_b32 s82, s82, 0xffffff                               // 000000014E38: 8652FF52 00FFFFFF
	s_cmp_lt_u32 s82, s66                                      // 000000014E40: BF0A4252
	s_cselect_b32 s21, s36, s60                                // 000000014E44: 85153C24
	s_mov_b64 exec, s[20:21]                                   // 000000014E48: BEFE0114
	global_atomic_add_f32 v6, v146, s[8:9] offset:8            // 000000014E4C: DD348008 00089206
	global_atomic_add_f32 v6, v150, s[8:9] offset:264          // 000000014E54: DD348108 00089606
	s_mov_b64 exec, s[36:37]                                   // 000000014E5C: BEFE0124
	v_mov_b32_e32 v6, v63                                      // 000000014E60: 7E0C033F
	s_mov_b64 s[60:61], 0                                      // 000000014E64: BEBC0180
	v_readlane_b32 s82, v3, 2                                  // 000000014E68: D2890052 00010503
	s_and_b32 s82, s82, 0xffffff                               // 000000014E70: 8652FF52 00FFFFFF
	s_cmp_lt_u32 s82, s66                                      // 000000014E78: BF0A4252
	s_cselect_b32 s20, s36, s60                                // 000000014E7C: 85143C24
	v_readlane_b32 s82, v3, 3                                  // 000000014E80: D2890052 00010703
	s_and_b32 s82, s82, 0xffffff                               // 000000014E88: 8652FF52 00FFFFFF
	s_cmp_lt_u32 s82, s66                                      // 000000014E90: BF0A4252
	s_cselect_b32 s21, s36, s60                                // 000000014E94: 85153C24
	s_mov_b64 exec, s[20:21]                                   // 000000014E98: BEFE0114
	global_atomic_add_f32 v6, v147, s[8:9] offset:8            // 000000014E9C: DD348008 00089306
	global_atomic_add_f32 v6, v151, s[8:9] offset:264          // 000000014EA4: DD348108 00089706
	s_mov_b64 exec, s[36:37]                                   // 000000014EAC: BEFE0124
	v_mov_b32_e32 v6, v64                                      // 000000014EB0: 7E0C0340
	s_mov_b64 s[60:61], 0                                      // 000000014EB4: BEBC0180
	v_readlane_b32 s82, v3, 4                                  // 000000014EB8: D2890052 00010903
	s_and_b32 s82, s82, 0xffffff                               // 000000014EC0: 8652FF52 00FFFFFF
	s_cmp_lt_u32 s82, s66                                      // 000000014EC8: BF0A4252
	s_cselect_b32 s20, s36, s60                                // 000000014ECC: 85143C24
	v_readlane_b32 s82, v3, 5                                  // 000000014ED0: D2890052 00010B03
	s_and_b32 s82, s82, 0xffffff                               // 000000014ED8: 8652FF52 00FFFFFF
	s_cmp_lt_u32 s82, s66                                      // 000000014EE0: BF0A4252
	s_cselect_b32 s21, s36, s60                                // 000000014EE4: 85153C24
	s_mov_b64 exec, s[20:21]                                   // 000000014EE8: BEFE0114
	global_atomic_add_f32 v6, v154, s[8:9] offset:8            // 000000014EEC: DD348008 00089A06
	global_atomic_add_f32 v6, v158, s[8:9] offset:264          // 000000014EF4: DD348108 00089E06
	s_mov_b64 exec, s[36:37]                                   // 000000014EFC: BEFE0124
	v_mov_b32_e32 v6, v65                                      // 000000014F00: 7E0C0341
	s_mov_b64 s[60:61], 0                                      // 000000014F04: BEBC0180
	v_readlane_b32 s82, v3, 6                                  // 000000014F08: D2890052 00010D03
	s_and_b32 s82, s82, 0xffffff                               // 000000014F10: 8652FF52 00FFFFFF
	s_cmp_lt_u32 s82, s66                                      // 000000014F18: BF0A4252
	s_cselect_b32 s20, s36, s60                                // 000000014F1C: 85143C24
	v_readlane_b32 s82, v3, 7                                  // 000000014F20: D2890052 00010F03
	s_and_b32 s82, s82, 0xffffff                               // 000000014F28: 8652FF52 00FFFFFF
	s_cmp_lt_u32 s82, s66                                      // 000000014F30: BF0A4252
	s_cselect_b32 s21, s36, s60                                // 000000014F34: 85153C24
	s_mov_b64 exec, s[20:21]                                   // 000000014F38: BEFE0114
	global_atomic_add_f32 v6, v155, s[8:9] offset:8            // 000000014F3C: DD348008 00089B06
	global_atomic_add_f32 v6, v159, s[8:9] offset:264          // 000000014F44: DD348108 00089F06
	s_mov_b64 exec, s[36:37]                                   // 000000014F4C: BEFE0124
	v_mov_b32_e32 v6, v66                                      // 000000014F50: 7E0C0342
	s_mov_b64 s[60:61], 0                                      // 000000014F54: BEBC0180
	v_readlane_b32 s82, v3, 8                                  // 000000014F58: D2890052 00011103
	s_and_b32 s82, s82, 0xffffff                               // 000000014F60: 8652FF52 00FFFFFF
	s_cmp_lt_u32 s82, s66                                      // 000000014F68: BF0A4252
	s_cselect_b32 s20, s36, s60                                // 000000014F6C: 85143C24
	v_readlane_b32 s82, v3, 9                                  // 000000014F70: D2890052 00011303
	s_and_b32 s82, s82, 0xffffff                               // 000000014F78: 8652FF52 00FFFFFF
	s_cmp_lt_u32 s82, s66                                      // 000000014F80: BF0A4252
	s_cselect_b32 s21, s36, s60                                // 000000014F84: 85153C24
	s_mov_b64 exec, s[20:21]                                   // 000000014F88: BEFE0114
	global_atomic_add_f32 v6, v162, s[8:9] offset:8            // 000000014F8C: DD348008 0008A206
	global_atomic_add_f32 v6, v166, s[8:9] offset:264          // 000000014F94: DD348108 0008A606
	s_mov_b64 exec, s[36:37]                                   // 000000014F9C: BEFE0124
	v_mov_b32_e32 v6, v67                                      // 000000014FA0: 7E0C0343
	s_mov_b64 s[60:61], 0                                      // 000000014FA4: BEBC0180
	v_readlane_b32 s82, v3, 10                                 // 000000014FA8: D2890052 00011503
	s_and_b32 s82, s82, 0xffffff                               // 000000014FB0: 8652FF52 00FFFFFF
	s_cmp_lt_u32 s82, s66                                      // 000000014FB8: BF0A4252
	s_cselect_b32 s20, s36, s60                                // 000000014FBC: 85143C24
	v_readlane_b32 s82, v3, 11                                 // 000000014FC0: D2890052 00011703
	s_and_b32 s82, s82, 0xffffff                               // 000000014FC8: 8652FF52 00FFFFFF
	s_cmp_lt_u32 s82, s66                                      // 000000014FD0: BF0A4252
	s_cselect_b32 s21, s36, s60                                // 000000014FD4: 85153C24
	s_mov_b64 exec, s[20:21]                                   // 000000014FD8: BEFE0114
	global_atomic_add_f32 v6, v163, s[8:9] offset:8            // 000000014FDC: DD348008 0008A306
	global_atomic_add_f32 v6, v167, s[8:9] offset:264          // 000000014FE4: DD348108 0008A706
	s_mov_b64 exec, s[36:37]                                   // 000000014FEC: BEFE0124
	v_mov_b32_e32 v6, v68                                      // 000000014FF0: 7E0C0344
	s_mov_b64 s[60:61], 0                                      // 000000014FF4: BEBC0180
	v_readlane_b32 s82, v3, 12                                 // 000000014FF8: D2890052 00011903
	s_and_b32 s82, s82, 0xffffff                               // 000000015000: 8652FF52 00FFFFFF
	s_cmp_lt_u32 s82, s66                                      // 000000015008: BF0A4252
	s_cselect_b32 s20, s36, s60                                // 00000001500C: 85143C24
	v_readlane_b32 s82, v3, 13                                 // 000000015010: D2890052 00011B03
	s_and_b32 s82, s82, 0xffffff                               // 000000015018: 8652FF52 00FFFFFF
	s_cmp_lt_u32 s82, s66                                      // 000000015020: BF0A4252
	s_cselect_b32 s21, s36, s60                                // 000000015024: 85153C24
	s_mov_b64 exec, s[20:21]                                   // 000000015028: BEFE0114
	global_atomic_add_f32 v6, v170, s[8:9] offset:8            // 00000001502C: DD348008 0008AA06
	global_atomic_add_f32 v6, v174, s[8:9] offset:264          // 000000015034: DD348108 0008AE06
	s_mov_b64 exec, s[36:37]                                   // 00000001503C: BEFE0124
	v_mov_b32_e32 v6, v69                                      // 000000015040: 7E0C0345
	s_mov_b64 s[60:61], 0                                      // 000000015044: BEBC0180
	v_readlane_b32 s82, v3, 14                                 // 000000015048: D2890052 00011D03
	s_and_b32 s82, s82, 0xffffff                               // 000000015050: 8652FF52 00FFFFFF
	s_cmp_lt_u32 s82, s66                                      // 000000015058: BF0A4252
	s_cselect_b32 s20, s36, s60                                // 00000001505C: 85143C24
	v_readlane_b32 s82, v3, 15                                 // 000000015060: D2890052 00011F03
	s_and_b32 s82, s82, 0xffffff                               // 000000015068: 8652FF52 00FFFFFF
	s_cmp_lt_u32 s82, s66                                      // 000000015070: BF0A4252
	s_cselect_b32 s21, s36, s60                                // 000000015074: 85153C24
	s_mov_b64 exec, s[20:21]                                   // 000000015078: BEFE0114
	global_atomic_add_f32 v6, v171, s[8:9] offset:8            // 00000001507C: DD348008 0008AB06
	global_atomic_add_f32 v6, v175, s[8:9] offset:264          // 000000015084: DD348108 0008AF06
	s_mov_b64 exec, s[36:37]                                   // 00000001508C: BEFE0124
	v_mov_b32_e32 v6, v70                                      // 000000015090: 7E0C0346
	s_mov_b64 s[60:61], 0                                      // 000000015094: BEBC0180
	v_readlane_b32 s82, v3, 16                                 // 000000015098: D2890052 00012103
	s_and_b32 s82, s82, 0xffffff                               // 0000000150A0: 8652FF52 00FFFFFF
	s_cmp_lt_u32 s82, s66                                      // 0000000150A8: BF0A4252
	s_cselect_b32 s20, s36, s60                                // 0000000150AC: 85143C24
	v_readlane_b32 s82, v3, 17                                 // 0000000150B0: D2890052 00012303
	s_and_b32 s82, s82, 0xffffff                               // 0000000150B8: 8652FF52 00FFFFFF
	s_cmp_lt_u32 s82, s66                                      // 0000000150C0: BF0A4252
	s_cselect_b32 s21, s36, s60                                // 0000000150C4: 85153C24
	s_mov_b64 exec, s[20:21]                                   // 0000000150C8: BEFE0114
	global_atomic_add_f32 v6, v178, s[8:9] offset:8            // 0000000150CC: DD348008 0008B206
	global_atomic_add_f32 v6, v182, s[8:9] offset:264          // 0000000150D4: DD348108 0008B606
	s_mov_b64 exec, s[36:37]                                   // 0000000150DC: BEFE0124
	v_mov_b32_e32 v6, v71                                      // 0000000150E0: 7E0C0347
	s_mov_b64 s[60:61], 0                                      // 0000000150E4: BEBC0180
	v_readlane_b32 s82, v3, 18                                 // 0000000150E8: D2890052 00012503
	s_and_b32 s82, s82, 0xffffff                               // 0000000150F0: 8652FF52 00FFFFFF
	s_cmp_lt_u32 s82, s66                                      // 0000000150F8: BF0A4252
	s_cselect_b32 s20, s36, s60                                // 0000000150FC: 85143C24
	v_readlane_b32 s82, v3, 19                                 // 000000015100: D2890052 00012703
	s_and_b32 s82, s82, 0xffffff                               // 000000015108: 8652FF52 00FFFFFF
	s_cmp_lt_u32 s82, s66                                      // 000000015110: BF0A4252
	s_cselect_b32 s21, s36, s60                                // 000000015114: 85153C24
	s_mov_b64 exec, s[20:21]                                   // 000000015118: BEFE0114
	global_atomic_add_f32 v6, v179, s[8:9] offset:8            // 00000001511C: DD348008 0008B306
	global_atomic_add_f32 v6, v183, s[8:9] offset:264          // 000000015124: DD348108 0008B706
	s_mov_b64 exec, s[36:37]                                   // 00000001512C: BEFE0124
	v_mov_b32_e32 v6, v72                                      // 000000015130: 7E0C0348
	s_mov_b64 s[60:61], 0                                      // 000000015134: BEBC0180
	v_readlane_b32 s82, v3, 20                                 // 000000015138: D2890052 00012903
	s_and_b32 s82, s82, 0xffffff                               // 000000015140: 8652FF52 00FFFFFF
	s_cmp_lt_u32 s82, s66                                      // 000000015148: BF0A4252
	s_cselect_b32 s20, s36, s60                                // 00000001514C: 85143C24
	v_readlane_b32 s82, v3, 21                                 // 000000015150: D2890052 00012B03
	s_and_b32 s82, s82, 0xffffff                               // 000000015158: 8652FF52 00FFFFFF
	s_cmp_lt_u32 s82, s66                                      // 000000015160: BF0A4252
	s_cselect_b32 s21, s36, s60                                // 000000015164: 85153C24
	s_mov_b64 exec, s[20:21]                                   // 000000015168: BEFE0114
	global_atomic_add_f32 v6, v186, s[8:9] offset:8            // 00000001516C: DD348008 0008BA06
	global_atomic_add_f32 v6, v190, s[8:9] offset:264          // 000000015174: DD348108 0008BE06
	s_mov_b64 exec, s[36:37]                                   // 00000001517C: BEFE0124
	v_mov_b32_e32 v6, v73                                      // 000000015180: 7E0C0349
	s_mov_b64 s[60:61], 0                                      // 000000015184: BEBC0180
	v_readlane_b32 s82, v3, 22                                 // 000000015188: D2890052 00012D03
	s_and_b32 s82, s82, 0xffffff                               // 000000015190: 8652FF52 00FFFFFF
	s_cmp_lt_u32 s82, s66                                      // 000000015198: BF0A4252
	s_cselect_b32 s20, s36, s60                                // 00000001519C: 85143C24
	v_readlane_b32 s82, v3, 23                                 // 0000000151A0: D2890052 00012F03
	s_and_b32 s82, s82, 0xffffff                               // 0000000151A8: 8652FF52 00FFFFFF
	s_cmp_lt_u32 s82, s66                                      // 0000000151B0: BF0A4252
	s_cselect_b32 s21, s36, s60                                // 0000000151B4: 85153C24
	s_mov_b64 exec, s[20:21]                                   // 0000000151B8: BEFE0114
	global_atomic_add_f32 v6, v187, s[8:9] offset:8            // 0000000151BC: DD348008 0008BB06
	global_atomic_add_f32 v6, v191, s[8:9] offset:264          // 0000000151C4: DD348108 0008BF06
	s_mov_b64 exec, s[36:37]                                   // 0000000151CC: BEFE0124
	v_mov_b32_e32 v6, v74                                      // 0000000151D0: 7E0C034A
	s_mov_b64 s[60:61], 0                                      // 0000000151D4: BEBC0180
	v_readlane_b32 s82, v3, 24                                 // 0000000151D8: D2890052 00013103
	s_and_b32 s82, s82, 0xffffff                               // 0000000151E0: 8652FF52 00FFFFFF
	s_cmp_lt_u32 s82, s66                                      // 0000000151E8: BF0A4252
	s_cselect_b32 s20, s36, s60                                // 0000000151EC: 85143C24
	v_readlane_b32 s82, v3, 25                                 // 0000000151F0: D2890052 00013303
	s_and_b32 s82, s82, 0xffffff                               // 0000000151F8: 8652FF52 00FFFFFF
	s_cmp_lt_u32 s82, s66                                      // 000000015200: BF0A4252
	s_cselect_b32 s21, s36, s60                                // 000000015204: 85153C24
	s_mov_b64 exec, s[20:21]                                   // 000000015208: BEFE0114
	global_atomic_add_f32 v6, v194, s[8:9] offset:8            // 00000001520C: DD348008 0008C206
	global_atomic_add_f32 v6, v198, s[8:9] offset:264          // 000000015214: DD348108 0008C606
	s_mov_b64 exec, s[36:37]                                   // 00000001521C: BEFE0124
	v_mov_b32_e32 v6, v75                                      // 000000015220: 7E0C034B
	s_mov_b64 s[60:61], 0                                      // 000000015224: BEBC0180
	v_readlane_b32 s82, v3, 26                                 // 000000015228: D2890052 00013503
	s_and_b32 s82, s82, 0xffffff                               // 000000015230: 8652FF52 00FFFFFF
	s_cmp_lt_u32 s82, s66                                      // 000000015238: BF0A4252
	s_cselect_b32 s20, s36, s60                                // 00000001523C: 85143C24
	v_readlane_b32 s82, v3, 27                                 // 000000015240: D2890052 00013703
	s_and_b32 s82, s82, 0xffffff                               // 000000015248: 8652FF52 00FFFFFF
	s_cmp_lt_u32 s82, s66                                      // 000000015250: BF0A4252
	s_cselect_b32 s21, s36, s60                                // 000000015254: 85153C24
	s_mov_b64 exec, s[20:21]                                   // 000000015258: BEFE0114
	global_atomic_add_f32 v6, v195, s[8:9] offset:8            // 00000001525C: DD348008 0008C306
	global_atomic_add_f32 v6, v199, s[8:9] offset:264          // 000000015264: DD348108 0008C706
	s_mov_b64 exec, s[36:37]                                   // 00000001526C: BEFE0124
	v_mov_b32_e32 v6, v76                                      // 000000015270: 7E0C034C
	s_mov_b64 s[60:61], 0                                      // 000000015274: BEBC0180
	v_readlane_b32 s82, v3, 28                                 // 000000015278: D2890052 00013903
	s_and_b32 s82, s82, 0xffffff                               // 000000015280: 8652FF52 00FFFFFF
	s_cmp_lt_u32 s82, s66                                      // 000000015288: BF0A4252
	s_cselect_b32 s20, s36, s60                                // 00000001528C: 85143C24
	v_readlane_b32 s82, v3, 29                                 // 000000015290: D2890052 00013B03
	s_and_b32 s82, s82, 0xffffff                               // 000000015298: 8652FF52 00FFFFFF
	s_cmp_lt_u32 s82, s66                                      // 0000000152A0: BF0A4252
	s_cselect_b32 s21, s36, s60                                // 0000000152A4: 85153C24
	s_mov_b64 exec, s[20:21]                                   // 0000000152A8: BEFE0114
	global_atomic_add_f32 v6, v202, s[8:9] offset:8            // 0000000152AC: DD348008 0008CA06
	global_atomic_add_f32 v6, v206, s[8:9] offset:264          // 0000000152B4: DD348108 0008CE06
	s_mov_b64 exec, s[36:37]                                   // 0000000152BC: BEFE0124
	v_mov_b32_e32 v6, v77                                      // 0000000152C0: 7E0C034D
	s_mov_b64 s[60:61], 0                                      // 0000000152C4: BEBC0180
	v_readlane_b32 s82, v3, 30                                 // 0000000152C8: D2890052 00013D03
	s_and_b32 s82, s82, 0xffffff                               // 0000000152D0: 8652FF52 00FFFFFF
	s_cmp_lt_u32 s82, s66                                      // 0000000152D8: BF0A4252
	s_cselect_b32 s20, s36, s60                                // 0000000152DC: 85143C24
	v_readlane_b32 s82, v3, 31                                 // 0000000152E0: D2890052 00013F03
	s_and_b32 s82, s82, 0xffffff                               // 0000000152E8: 8652FF52 00FFFFFF
	s_cmp_lt_u32 s82, s66                                      // 0000000152F0: BF0A4252
	s_cselect_b32 s21, s36, s60                                // 0000000152F4: 85153C24
	s_mov_b64 exec, s[20:21]                                   // 0000000152F8: BEFE0114
	global_atomic_add_f32 v6, v203, s[8:9] offset:8            // 0000000152FC: DD348008 0008CB06
	global_atomic_add_f32 v6, v207, s[8:9] offset:264          // 000000015304: DD348108 0008CF06
	s_mov_b64 exec, s[36:37]                                   // 00000001530C: BEFE0124
	s_branch label_4A48                                        // 000000015310: BF820000

0000000000015314 <label_4A48>:
	s_waitcnt vmcnt(0) expcnt(0) lgkmcnt(0)                    // 000000015314: BF8C0000
	s_endpgm                                                   // 000000015318: BF810000
